;; amdgpu-corpus repo=pytorch/pytorch kind=compiled arch=gfx950 opt=O3
	.amdgcn_target "amdgcn-amd-amdhsa--gfx950"
	.amdhsa_code_object_version 6
	.section	.text._ZN2at6native12_GLOBAL__N_122cdist_kernel_cuda_implIdNS1_5distsIdE1pEEEvPT_PKS6_S9_S6_lllll,"axG",@progbits,_ZN2at6native12_GLOBAL__N_122cdist_kernel_cuda_implIdNS1_5distsIdE1pEEEvPT_PKS6_S9_S6_lllll,comdat
	.globl	_ZN2at6native12_GLOBAL__N_122cdist_kernel_cuda_implIdNS1_5distsIdE1pEEEvPT_PKS6_S9_S6_lllll ; -- Begin function _ZN2at6native12_GLOBAL__N_122cdist_kernel_cuda_implIdNS1_5distsIdE1pEEEvPT_PKS6_S9_S6_lllll
	.p2align	8
	.type	_ZN2at6native12_GLOBAL__N_122cdist_kernel_cuda_implIdNS1_5distsIdE1pEEEvPT_PKS6_S9_S6_lllll,@function
_ZN2at6native12_GLOBAL__N_122cdist_kernel_cuda_implIdNS1_5distsIdE1pEEEvPT_PKS6_S9_S6_lllll: ; @_ZN2at6native12_GLOBAL__N_122cdist_kernel_cuda_implIdNS1_5distsIdE1pEEEvPT_PKS6_S9_S6_lllll
; %bb.0:
	s_load_dwordx16 s[8:23], s[0:1], 0x0
	s_mov_b32 s3, 0
	s_mov_b32 s4, s3
	s_waitcnt lgkmcnt(0)
	s_mov_b32 s5, s21
	s_cmp_lg_u64 s[4:5], 0
	s_cbranch_scc0 .LBB0_19
; %bb.1:
	s_ashr_i32 s4, s21, 31
	s_add_u32 s6, s20, s4
	s_mov_b32 s5, s4
	s_addc_u32 s7, s21, s4
	s_xor_b64 s[24:25], s[6:7], s[4:5]
	v_cvt_f32_u32_e32 v1, s24
	v_cvt_f32_u32_e32 v2, s25
	s_sub_u32 s28, 0, s24
	s_subb_u32 s29, 0, s25
	v_fmamk_f32 v1, v2, 0x4f800000, v1
	v_rcp_f32_e32 v1, v1
	s_nop 0
	v_mul_f32_e32 v1, 0x5f7ffffc, v1
	v_mul_f32_e32 v2, 0x2f800000, v1
	v_trunc_f32_e32 v2, v2
	v_fmamk_f32 v1, v2, 0xcf800000, v1
	v_cvt_u32_f32_e32 v2, v2
	v_cvt_u32_f32_e32 v1, v1
	v_readfirstlane_b32 s30, v2
	v_readfirstlane_b32 s26, v1
	s_mul_i32 s27, s28, s30
	s_mul_hi_u32 s33, s28, s26
	s_mul_i32 s31, s29, s26
	s_add_i32 s27, s33, s27
	s_add_i32 s27, s27, s31
	s_mul_i32 s34, s28, s26
	s_mul_i32 s33, s26, s27
	s_mul_hi_u32 s35, s26, s34
	s_mul_hi_u32 s31, s26, s27
	s_add_u32 s33, s35, s33
	s_addc_u32 s31, 0, s31
	s_mul_hi_u32 s36, s30, s34
	s_mul_i32 s34, s30, s34
	s_add_u32 s33, s33, s34
	s_mul_hi_u32 s35, s30, s27
	s_addc_u32 s31, s31, s36
	s_addc_u32 s33, s35, 0
	s_mul_i32 s27, s30, s27
	s_add_u32 s27, s31, s27
	s_addc_u32 s31, 0, s33
	s_add_u32 s33, s26, s27
	s_cselect_b64 s[26:27], -1, 0
	s_cmp_lg_u64 s[26:27], 0
	s_addc_u32 s30, s30, s31
	s_mul_i32 s26, s28, s30
	s_mul_hi_u32 s27, s28, s33
	s_add_i32 s26, s27, s26
	s_mul_i32 s29, s29, s33
	s_add_i32 s26, s26, s29
	s_mul_i32 s28, s28, s33
	s_mul_hi_u32 s29, s30, s28
	s_mul_i32 s31, s30, s28
	s_mul_i32 s35, s33, s26
	s_mul_hi_u32 s28, s33, s28
	s_mul_hi_u32 s34, s33, s26
	s_add_u32 s28, s28, s35
	s_addc_u32 s34, 0, s34
	s_add_u32 s28, s28, s31
	s_mul_hi_u32 s27, s30, s26
	s_addc_u32 s28, s34, s29
	s_addc_u32 s27, s27, 0
	s_mul_i32 s26, s30, s26
	s_add_u32 s26, s28, s26
	s_addc_u32 s28, 0, s27
	s_add_u32 s29, s33, s26
	s_cselect_b64 s[26:27], -1, 0
	s_cmp_lg_u64 s[26:27], 0
	s_addc_u32 s28, s30, s28
	s_add_u32 s26, s2, 0
	s_addc_u32 s27, 0, 0
	s_xor_b64 s[26:27], s[26:27], 0
	s_mul_i32 s31, s26, s28
	s_mul_hi_u32 s33, s26, s29
	s_mul_hi_u32 s30, s26, s28
	s_add_u32 s31, s33, s31
	s_addc_u32 s30, 0, s30
	s_mul_hi_u32 s34, s27, s29
	s_mul_i32 s29, s27, s29
	s_add_u32 s29, s31, s29
	s_mul_hi_u32 s33, s27, s28
	s_addc_u32 s29, s30, s34
	s_addc_u32 s30, s33, 0
	s_mul_i32 s28, s27, s28
	s_add_u32 s33, s29, s28
	s_addc_u32 s34, 0, s30
	s_mul_i32 s28, s24, s34
	s_mul_hi_u32 s29, s24, s33
	s_add_i32 s28, s29, s28
	s_mul_i32 s29, s25, s33
	s_add_i32 s35, s28, s29
	s_sub_i32 s30, s27, s35
	s_mul_i32 s28, s24, s33
	s_sub_u32 s26, s26, s28
	s_cselect_b64 s[28:29], -1, 0
	s_cmp_lg_u64 s[28:29], 0
	s_subb_u32 s36, s30, s25
	s_sub_u32 s37, s26, s24
	s_cselect_b64 s[30:31], -1, 0
	s_cmp_lg_u64 s[30:31], 0
	s_subb_u32 s30, s36, 0
	s_cmp_ge_u32 s30, s25
	s_cselect_b32 s31, -1, 0
	s_cmp_ge_u32 s37, s24
	s_cselect_b32 s36, -1, 0
	s_cmp_eq_u32 s30, s25
	s_cselect_b32 s30, s36, s31
	s_add_u32 s31, s33, 1
	s_addc_u32 s36, s34, 0
	s_add_u32 s37, s33, 2
	s_addc_u32 s38, s34, 0
	s_cmp_lg_u32 s30, 0
	s_cselect_b32 s30, s37, s31
	s_cselect_b32 s31, s38, s36
	s_cmp_lg_u64 s[28:29], 0
	s_subb_u32 s27, s27, s35
	s_cmp_ge_u32 s27, s25
	s_cselect_b32 s28, -1, 0
	s_cmp_ge_u32 s26, s24
	s_cselect_b32 s24, -1, 0
	s_cmp_eq_u32 s27, s25
	s_cselect_b32 s24, s24, s28
	s_cmp_lg_u32 s24, 0
	s_cselect_b32 s25, s31, s34
	s_cselect_b32 s24, s30, s33
	s_xor_b64 s[4:5], 0, s[4:5]
	s_xor_b64 s[24:25], s[24:25], s[4:5]
	s_sub_u32 s4, s24, s4
	s_subb_u32 s5, s25, s5
	s_cbranch_execnz .LBB0_3
.LBB0_2:
	v_cvt_f32_u32_e32 v1, s20
	s_sub_i32 s4, 0, s20
	s_mov_b32 s5, 0
	v_rcp_iflag_f32_e32 v1, v1
	s_nop 0
	v_mul_f32_e32 v1, 0x4f7ffffe, v1
	v_cvt_u32_f32_e32 v1, v1
	s_nop 0
	v_readfirstlane_b32 s6, v1
	s_mul_i32 s4, s4, s6
	s_mul_hi_u32 s4, s6, s4
	s_add_i32 s6, s6, s4
	s_mul_hi_u32 s4, s2, s6
	s_mul_i32 s7, s4, s20
	s_sub_i32 s7, s2, s7
	s_add_i32 s6, s4, 1
	s_sub_i32 s24, s7, s20
	s_cmp_ge_u32 s7, s20
	s_cselect_b32 s4, s6, s4
	s_cselect_b32 s7, s24, s7
	s_add_i32 s6, s4, 1
	s_cmp_ge_u32 s7, s20
	s_cselect_b32 s4, s6, s4
.LBB0_3:
	s_mul_i32 s6, s4, s21
	s_mul_hi_u32 s7, s4, s20
	s_add_i32 s6, s7, s6
	s_mul_i32 s7, s5, s20
	s_add_i32 s6, s6, s7
	s_mul_i32 s7, s4, s20
	s_sub_u32 s24, s2, s7
	s_subb_u32 s25, 0, s6
	s_or_b64 s[6:7], s[24:25], s[16:17]
	s_mov_b32 s6, 0
	s_cmp_lg_u64 s[6:7], 0
	s_cbranch_scc0 .LBB0_20
; %bb.4:
	s_ashr_i32 s6, s17, 31
	s_add_u32 s20, s16, s6
	s_mov_b32 s7, s6
	s_addc_u32 s21, s17, s6
	s_xor_b64 s[26:27], s[20:21], s[6:7]
	v_cvt_f32_u32_e32 v1, s26
	v_cvt_f32_u32_e32 v2, s27
	s_sub_u32 s30, 0, s26
	s_subb_u32 s31, 0, s27
	v_fmamk_f32 v1, v2, 0x4f800000, v1
	v_rcp_f32_e32 v1, v1
	s_nop 0
	v_mul_f32_e32 v1, 0x5f7ffffc, v1
	v_mul_f32_e32 v2, 0x2f800000, v1
	v_trunc_f32_e32 v2, v2
	v_fmamk_f32 v1, v2, 0xcf800000, v1
	v_cvt_u32_f32_e32 v2, v2
	v_cvt_u32_f32_e32 v1, v1
	v_readfirstlane_b32 s33, v2
	v_readfirstlane_b32 s28, v1
	s_mul_i32 s29, s30, s33
	s_mul_hi_u32 s35, s30, s28
	s_mul_i32 s34, s31, s28
	s_add_i32 s29, s35, s29
	s_add_i32 s29, s29, s34
	s_mul_i32 s36, s30, s28
	s_mul_i32 s35, s28, s29
	s_mul_hi_u32 s37, s28, s36
	s_mul_hi_u32 s34, s28, s29
	s_add_u32 s35, s37, s35
	s_addc_u32 s34, 0, s34
	s_mul_hi_u32 s38, s33, s36
	s_mul_i32 s36, s33, s36
	s_add_u32 s35, s35, s36
	s_mul_hi_u32 s37, s33, s29
	s_addc_u32 s34, s34, s38
	s_addc_u32 s35, s37, 0
	s_mul_i32 s29, s33, s29
	s_add_u32 s29, s34, s29
	s_addc_u32 s34, 0, s35
	s_add_u32 s35, s28, s29
	s_cselect_b64 s[28:29], -1, 0
	s_cmp_lg_u64 s[28:29], 0
	s_addc_u32 s33, s33, s34
	s_mul_i32 s28, s30, s33
	s_mul_hi_u32 s29, s30, s35
	s_add_i32 s28, s29, s28
	s_mul_i32 s31, s31, s35
	s_add_i32 s28, s28, s31
	s_mul_i32 s30, s30, s35
	s_mul_hi_u32 s31, s33, s30
	s_mul_i32 s34, s33, s30
	s_mul_i32 s37, s35, s28
	s_mul_hi_u32 s30, s35, s30
	s_mul_hi_u32 s36, s35, s28
	s_add_u32 s30, s30, s37
	s_addc_u32 s36, 0, s36
	s_add_u32 s30, s30, s34
	s_mul_hi_u32 s29, s33, s28
	s_addc_u32 s30, s36, s31
	s_addc_u32 s29, s29, 0
	s_mul_i32 s28, s33, s28
	s_add_u32 s28, s30, s28
	s_addc_u32 s30, 0, s29
	s_add_u32 s34, s35, s28
	s_cselect_b64 s[28:29], -1, 0
	s_cmp_lg_u64 s[28:29], 0
	s_addc_u32 s33, s33, s30
	s_ashr_i32 s28, s25, 31
	s_add_u32 s30, s24, s28
	s_mov_b32 s29, s28
	s_addc_u32 s31, s25, s28
	s_xor_b64 s[30:31], s[30:31], s[28:29]
	s_mul_i32 s36, s30, s33
	s_mul_hi_u32 s37, s30, s34
	s_mul_hi_u32 s35, s30, s33
	s_add_u32 s36, s37, s36
	s_addc_u32 s35, 0, s35
	s_mul_hi_u32 s38, s31, s34
	s_mul_i32 s34, s31, s34
	s_add_u32 s34, s36, s34
	s_mul_hi_u32 s37, s31, s33
	s_addc_u32 s34, s35, s38
	s_addc_u32 s35, s37, 0
	s_mul_i32 s33, s31, s33
	s_add_u32 s33, s34, s33
	s_addc_u32 s38, 0, s35
	s_mul_i32 s34, s26, s38
	s_mul_hi_u32 s35, s26, s33
	s_add_i32 s34, s35, s34
	s_mul_i32 s35, s27, s33
	s_add_i32 s39, s34, s35
	s_sub_i32 s36, s31, s39
	s_mul_i32 s34, s26, s33
	s_sub_u32 s30, s30, s34
	s_cselect_b64 s[34:35], -1, 0
	s_cmp_lg_u64 s[34:35], 0
	s_subb_u32 s40, s36, s27
	s_sub_u32 s41, s30, s26
	s_cselect_b64 s[36:37], -1, 0
	s_cmp_lg_u64 s[36:37], 0
	s_subb_u32 s36, s40, 0
	s_cmp_ge_u32 s36, s27
	s_cselect_b32 s37, -1, 0
	s_cmp_ge_u32 s41, s26
	s_cselect_b32 s40, -1, 0
	s_cmp_eq_u32 s36, s27
	s_cselect_b32 s36, s40, s37
	s_add_u32 s37, s33, 1
	s_addc_u32 s40, s38, 0
	s_add_u32 s41, s33, 2
	s_addc_u32 s42, s38, 0
	s_cmp_lg_u32 s36, 0
	s_cselect_b32 s36, s41, s37
	s_cselect_b32 s37, s42, s40
	s_cmp_lg_u64 s[34:35], 0
	s_subb_u32 s31, s31, s39
	s_cmp_ge_u32 s31, s27
	s_cselect_b32 s34, -1, 0
	s_cmp_ge_u32 s30, s26
	s_cselect_b32 s26, -1, 0
	s_cmp_eq_u32 s31, s27
	s_cselect_b32 s26, s26, s34
	s_cmp_lg_u32 s26, 0
	s_cselect_b32 s27, s37, s38
	s_cselect_b32 s26, s36, s33
	s_xor_b64 s[6:7], s[28:29], s[6:7]
	s_xor_b64 s[26:27], s[26:27], s[6:7]
	s_sub_u32 s26, s26, s6
	s_subb_u32 s27, s27, s7
	s_cbranch_execnz .LBB0_6
.LBB0_5:
	v_cvt_f32_u32_e32 v1, s16
	s_sub_i32 s6, 0, s16
	s_mov_b32 s27, 0
	v_rcp_iflag_f32_e32 v1, v1
	s_nop 0
	v_mul_f32_e32 v1, 0x4f7ffffe, v1
	v_cvt_u32_f32_e32 v1, v1
	s_nop 0
	v_readfirstlane_b32 s7, v1
	s_mul_i32 s6, s6, s7
	s_mul_hi_u32 s6, s7, s6
	s_add_i32 s7, s7, s6
	s_mul_hi_u32 s6, s24, s7
	s_mul_i32 s20, s6, s16
	s_sub_i32 s20, s24, s20
	s_add_i32 s7, s6, 1
	s_sub_i32 s21, s20, s16
	s_cmp_ge_u32 s20, s16
	s_cselect_b32 s6, s7, s6
	s_cselect_b32 s20, s21, s20
	s_add_i32 s7, s6, 1
	s_cmp_ge_u32 s20, s16
	s_cselect_b32 s26, s7, s6
.LBB0_6:
	s_load_dword s33, s[0:1], 0x54
	v_mov_b32_e32 v1, 0
	v_cmp_gt_i64_e32 vcc, s[18:19], v[0:1]
	v_mov_b64_e32 v[6:7], 0
	s_and_saveexec_b64 s[6:7], vcc
	s_cbranch_execz .LBB0_10
; %bb.7:
	s_mul_i32 s20, s4, s23
	s_mul_hi_u32 s21, s4, s22
	s_add_i32 s20, s21, s20
	s_mul_i32 s21, s5, s22
	s_add_i32 s21, s20, s21
	s_mul_i32 s20, s4, s22
	s_lshl_b64 s[20:21], s[20:21], 3
	s_add_u32 s20, s10, s20
	s_addc_u32 s21, s11, s21
	s_mul_i32 s10, s26, s19
	s_mul_hi_u32 s11, s26, s18
	s_add_i32 s10, s11, s10
	s_mul_i32 s11, s27, s18
	s_load_dwordx2 s[0:1], s[0:1], 0x40
	s_add_i32 s11, s10, s11
	s_mul_i32 s10, s26, s18
	s_lshl_b64 s[10:11], s[10:11], 3
	s_add_u32 s10, s20, s10
	s_addc_u32 s11, s21, s11
	s_lshl_b64 s[20:21], s[18:19], 3
	s_add_u32 s20, s10, s20
	s_waitcnt lgkmcnt(0)
	s_mul_i32 s1, s4, s1
	s_mul_hi_u32 s22, s4, s0
	s_addc_u32 s21, s11, s21
	s_add_i32 s1, s22, s1
	s_mul_i32 s5, s5, s0
	s_add_i32 s1, s1, s5
	s_mul_i32 s0, s4, s0
	s_lshl_b64 s[0:1], s[0:1], 3
	s_add_u32 s4, s12, s0
	s_addc_u32 s5, s13, s1
	s_mul_i32 s0, s26, s17
	s_mul_hi_u32 s1, s26, s16
	s_add_i32 s0, s1, s0
	s_mul_i32 s1, s27, s16
	s_add_i32 s0, s0, s1
	s_mul_i32 s1, s26, s16
	s_sub_u32 s12, s24, s1
	s_subb_u32 s0, s25, s0
	s_mul_i32 s1, s12, s19
	s_mul_hi_u32 s13, s12, s18
	s_add_i32 s1, s13, s1
	s_mul_i32 s0, s0, s18
	s_add_i32 s1, s1, s0
	s_mul_i32 s0, s12, s18
	s_lshl_b64 s[0:1], s[0:1], 3
	s_add_u32 s12, s4, s0
	v_lshlrev_b32_e32 v2, 3, v0
	s_mov_b32 s23, 0
	v_mov_b32_e32 v3, v1
	s_addc_u32 s13, s5, s1
	s_and_b32 s0, s33, 0xffff
	s_mov_b32 s24, 0x55555555
	s_mov_b32 s26, 0x4222de17
	;; [unrolled: 1-line block ×10, first 2 shown]
	v_lshl_add_u64 v[4:5], s[10:11], 0, v[2:3]
	s_lshl_b32 s16, s0, 3
	s_mov_b32 s17, s23
	v_mov_b64_e32 v[6:7], 0
	s_mov_b64 s[18:19], 0
	v_mov_b32_e32 v1, 0x3ff00000
	v_mov_b32_e32 v46, s15
	;; [unrolled: 1-line block ×3, first 2 shown]
	s_mov_b32 s25, 0x3fe55555
	v_mov_b32_e32 v8, 0x968915a9
	v_mov_b32_e32 v9, 0x3fba6564
	s_mov_b32 s27, 0x3fbdee67
	v_mov_b32_e32 v10, 0x3abe935a
	v_mov_b32_e32 v11, 0x3fbe25e4
	;; [unrolled: 1-line block ×14, first 2 shown]
	s_mov_b32 s29, 0x3fe62e42
	s_mov_b32 s31, 0x3c7abc9e
	;; [unrolled: 1-line block ×4, first 2 shown]
	s_movk_i32 s56, 0x204
	s_mov_b32 s39, 0x7ff00000
	s_mov_b32 s41, 0x3ff71547
	;; [unrolled: 1-line block ×4, first 2 shown]
	v_mov_b32_e32 v24, 0xfca7ab0c
	v_mov_b32_e32 v25, 0x3e928af3
	s_mov_b32 s47, 0x3e5ade15
	v_mov_b32_e32 v26, 0x623fde64
	v_mov_b32_e32 v27, 0x3ec71dee
	;; [unrolled: 1-line block ×10, first 2 shown]
	s_mov_b32 s49, 0x40900000
	s_mov_b32 s51, 0xc090cc00
	s_lshl_b32 s22, s0, 3
	v_mov_b32_e32 v36, 0x555502a1
	v_mov_b32_e32 v37, 0x3fa55555
	;; [unrolled: 1-line block ×8, first 2 shown]
.LBB0_8:                                ; =>This Inner Loop Header: Depth=1
	v_lshl_add_u64 v[44:45], s[10:11], 0, v[2:3]
	v_lshl_add_u64 v[42:43], s[12:13], 0, v[2:3]
	global_load_dwordx2 v[50:51], v[44:45], off
	global_load_dwordx2 v[52:53], v[42:43], off
	s_mov_b32 s34, s24
	s_mov_b32 s42, s28
	;; [unrolled: 1-line block ×3, first 2 shown]
	v_lshl_add_u64 v[4:5], v[4:5], 0, s[22:23]
	v_cmp_le_u64_e64 s[0:1], s[20:21], v[4:5]
	v_lshl_add_u64 v[2:3], v[2:3], 0, s[16:17]
	s_waitcnt vmcnt(0)
	v_add_f64 v[44:45], v[50:51], -v[52:53]
	v_cmp_neq_f64_e64 vcc, |v[44:45]|, 1.0
	s_nop 1
	v_cndmask_b32_e32 v43, v1, v46, vcc
	v_cndmask_b32_e32 v42, 0, v47, vcc
	v_cmp_neq_f64_e32 vcc, 0, v[42:43]
	v_cmp_neq_f64_e64 s[58:59], v[42:43], |v[42:43]|
	v_cmp_gt_f64_e64 s[4:5], 0, v[42:43]
	v_cndmask_b32_e32 v45, v1, v45, vcc
	v_cndmask_b32_e32 v44, 0, v44, vcc
	v_frexp_mant_f64_e64 v[50:51], |v[44:45]|
	v_cmp_gt_f64_e32 vcc, s[24:25], v[50:51]
	v_frexp_exp_i32_f64_e32 v68, v[44:45]
	v_cmp_lt_f64_e64 s[60:61], |v[44:45]|, 1.0
	v_cndmask_b32_e64 v52, 0, 1, vcc
	v_ldexp_f64 v[50:51], v[50:51], v52
	v_add_f64 v[52:53], v[50:51], 1.0
	v_rcp_f64_e32 v[56:57], v[52:53]
	v_add_f64 v[58:59], v[52:53], -1.0
	v_add_f64 v[54:55], v[50:51], -1.0
	v_add_f64 v[50:51], v[50:51], -v[58:59]
	v_fma_f64 v[58:59], -v[52:53], v[56:57], 1.0
	v_fmac_f64_e32 v[56:57], v[58:59], v[56:57]
	v_fma_f64 v[58:59], -v[52:53], v[56:57], 1.0
	v_fmac_f64_e32 v[56:57], v[58:59], v[56:57]
	v_mul_f64 v[58:59], v[54:55], v[56:57]
	v_mul_f64 v[60:61], v[52:53], v[58:59]
	v_fma_f64 v[52:53], v[58:59], v[52:53], -v[60:61]
	v_fmac_f64_e32 v[52:53], v[58:59], v[50:51]
	v_add_f64 v[50:51], v[60:61], v[52:53]
	v_add_f64 v[62:63], v[54:55], -v[50:51]
	v_add_f64 v[60:61], v[50:51], -v[60:61]
	;; [unrolled: 1-line block ×5, first 2 shown]
	v_add_f64 v[50:51], v[52:53], v[50:51]
	v_add_f64 v[50:51], v[62:63], v[50:51]
	v_mul_f64 v[50:51], v[56:57], v[50:51]
	v_add_f64 v[52:53], v[58:59], v[50:51]
	v_add_f64 v[54:55], v[52:53], -v[58:59]
	v_mul_f64 v[56:57], v[52:53], v[52:53]
	v_add_f64 v[50:51], v[50:51], -v[54:55]
	v_fma_f64 v[54:55], v[52:53], v[52:53], -v[56:57]
	v_add_f64 v[58:59], v[50:51], v[50:51]
	v_fmac_f64_e32 v[54:55], v[52:53], v[58:59]
	v_add_f64 v[58:59], v[56:57], v[54:55]
	v_add_f64 v[56:57], v[58:59], -v[56:57]
	v_fma_f64 v[60:61], s[26:27], v[58:59], v[8:9]
	v_add_f64 v[54:55], v[54:55], -v[56:57]
	v_fma_f64 v[56:57], v[58:59], v[60:61], v[10:11]
	v_fma_f64 v[56:57], v[58:59], v[56:57], v[12:13]
	;; [unrolled: 1-line block ×6, first 2 shown]
	v_mul_f64 v[62:63], v[52:53], v[58:59]
	v_fma_f64 v[56:57], v[58:59], v[56:57], v[22:23]
	v_fma_f64 v[60:61], v[58:59], v[52:53], -v[62:63]
	v_mul_f64 v[66:67], v[58:59], v[56:57]
	v_fmac_f64_e32 v[60:61], v[58:59], v[50:51]
	v_fma_f64 v[58:59], v[58:59], v[56:57], -v[66:67]
	v_fmac_f64_e32 v[58:59], v[54:55], v[56:57]
	v_fmac_f64_e32 v[60:61], v[54:55], v[52:53]
	v_add_f64 v[54:55], v[66:67], v[58:59]
	v_add_f64 v[56:57], v[54:55], -v[66:67]
	v_add_f64 v[66:67], v[54:55], s[24:25]
	v_add_f64 v[56:57], v[58:59], -v[56:57]
	v_add_f64 v[58:59], v[66:67], s[34:35]
	v_add_f64 v[54:55], v[54:55], -v[58:59]
	v_add_f64 v[56:57], v[56:57], s[36:37]
	v_add_f64 v[54:55], v[56:57], v[54:55]
	;; [unrolled: 1-line block ×4, first 2 shown]
	v_add_f64 v[58:59], v[66:67], -v[56:57]
	v_mul_f64 v[66:67], v[64:65], v[56:57]
	v_add_f64 v[62:63], v[64:65], -v[62:63]
	v_add_f64 v[54:55], v[54:55], v[58:59]
	v_fma_f64 v[58:59], v[64:65], v[56:57], -v[66:67]
	v_add_f64 v[60:61], v[60:61], -v[62:63]
	v_subbrev_co_u32_e32 v62, vcc, 0, v68, vcc
	v_fmac_f64_e32 v[58:59], v[64:65], v[54:55]
	v_cvt_f64_i32_e32 v[62:63], v62
	v_fmac_f64_e32 v[58:59], v[60:61], v[56:57]
	v_mul_f64 v[56:57], v[62:63], s[28:29]
	v_fma_f64 v[60:61], v[62:63], s[28:29], -v[56:57]
	v_fmac_f64_e32 v[60:61], s[30:31], v[62:63]
	v_add_f64 v[62:63], v[56:57], v[60:61]
	v_add_f64 v[56:57], v[62:63], -v[56:57]
	v_add_f64 v[56:57], v[60:61], -v[56:57]
	v_add_f64 v[60:61], v[66:67], v[58:59]
	v_ldexp_f64 v[52:53], v[52:53], 1
	v_add_f64 v[66:67], v[60:61], -v[66:67]
	v_add_f64 v[58:59], v[58:59], -v[66:67]
	v_add_f64 v[66:67], v[52:53], v[60:61]
	v_add_f64 v[52:53], v[66:67], -v[52:53]
	v_ldexp_f64 v[50:51], v[50:51], 1
	v_add_f64 v[52:53], v[60:61], -v[52:53]
	v_add_f64 v[50:51], v[50:51], v[58:59]
	v_add_f64 v[50:51], v[50:51], v[52:53]
	;; [unrolled: 1-line block ×3, first 2 shown]
	v_add_f64 v[58:59], v[52:53], -v[66:67]
	v_add_f64 v[60:61], v[62:63], v[52:53]
	v_add_f64 v[50:51], v[50:51], -v[58:59]
	v_add_f64 v[58:59], v[60:61], -v[62:63]
	;; [unrolled: 1-line block ×5, first 2 shown]
	v_add_f64 v[62:63], v[56:57], v[50:51]
	v_add_f64 v[52:53], v[52:53], v[58:59]
	v_add_f64 v[58:59], v[62:63], -v[56:57]
	v_add_f64 v[50:51], v[50:51], -v[58:59]
	v_add_f64 v[58:59], v[62:63], -v[58:59]
	v_add_f64 v[56:57], v[56:57], -v[58:59]
	v_add_f64 v[52:53], v[62:63], v[52:53]
	v_add_f64 v[50:51], v[50:51], v[56:57]
	;; [unrolled: 1-line block ×3, first 2 shown]
	v_add_f64 v[58:59], v[56:57], -v[60:61]
	v_add_f64 v[52:53], v[52:53], -v[58:59]
	v_add_f64 v[50:51], v[50:51], v[52:53]
	v_add_f64 v[52:53], v[56:57], v[50:51]
	v_add_f64 v[56:57], v[52:53], -v[56:57]
	v_mul_f64 v[58:59], v[42:43], v[52:53]
	s_xor_b64 s[58:59], s[58:59], s[60:61]
	v_add_f64 v[50:51], v[50:51], -v[56:57]
	v_fma_f64 v[52:53], v[42:43], v[52:53], -v[58:59]
	v_cndmask_b32_e64 v69, v48, 0, s[58:59]
	v_cmp_neq_f64_e64 vcc, |v[44:45]|, 1.0
	v_fmac_f64_e32 v[52:53], v[42:43], v[50:51]
	v_add_f64 v[50:51], v[58:59], v[52:53]
	v_cndmask_b32_e32 v69, v1, v69, vcc
	v_cmp_class_f64_e64 vcc, v[58:59], s56
	v_mov_b64_e32 v[54:55], v[38:39]
	v_mov_b64_e32 v[64:65], v[40:41]
	v_cndmask_b32_e32 v57, v51, v59, vcc
	v_cndmask_b32_e32 v56, v50, v58, vcc
	v_add_f64 v[50:51], v[50:51], -v[58:59]
	v_add_f64 v[50:51], v[52:53], -v[50:51]
	v_mul_f64 v[52:53], v[56:57], s[40:41]
	v_rndne_f64_e32 v[52:53], v[52:53]
	v_fma_f64 v[58:59], s[42:43], v[52:53], v[56:57]
	v_fmac_f64_e32 v[58:59], s[44:45], v[52:53]
	v_cvt_i32_f64_e32 v60, v[52:53]
	v_fma_f64 v[52:53], s[46:47], v[58:59], v[24:25]
	v_fma_f64 v[52:53], v[58:59], v[52:53], v[26:27]
	;; [unrolled: 1-line block ×7, first 2 shown]
	v_fmac_f64_e32 v[54:55], v[58:59], v[52:53]
	v_fmac_f64_e32 v[64:65], v[58:59], v[54:55]
	v_cmp_eq_f64_e64 s[54:55], |v[44:45]|, 0
	v_fma_f64 v[52:53], v[58:59], v[64:65], 1.0
	s_xor_b64 s[4:5], s[4:5], s[54:55]
	v_cmp_neq_f64_e64 vcc, |v[56:57]|, s[38:39]
	v_fma_f64 v[52:53], v[58:59], v[52:53], 1.0
	v_cndmask_b32_e64 v68, v48, 0, s[4:5]
	v_cndmask_b32_e32 v51, 0, v51, vcc
	v_cndmask_b32_e32 v50, 0, v50, vcc
	v_ldexp_f64 v[52:53], v[52:53], v60
	v_cmp_nlt_f64_e32 vcc, s[48:49], v[56:57]
	v_cmp_ngt_f64_e64 s[4:5], s[50:51], v[56:57]
	v_cmp_class_f64_e64 s[52:53], v[44:45], s56
	v_cndmask_b32_e32 v53, v48, v53, vcc
	s_and_b64 vcc, s[4:5], vcc
	v_cndmask_b32_e64 v53, 0, v53, s[4:5]
	v_cndmask_b32_e32 v52, 0, v52, vcc
	v_mov_b64_e32 v[54:55], v[52:53]
	v_fmac_f64_e32 v[54:55], v[54:55], v[50:51]
	v_cmp_class_f64_e64 vcc, v[52:53], s56
	s_or_b64 s[4:5], s[54:55], s[52:53]
	s_nop 0
	v_cndmask_b32_e32 v50, v55, v53, vcc
	v_cndmask_b32_e32 v51, v54, v52, vcc
	v_and_b32_e32 v50, 0x7fffffff, v50
	v_cmp_class_f64_e64 vcc, v[42:43], s56
	s_nop 1
	v_cndmask_b32_e32 v50, v50, v69, vcc
	v_cndmask_b32_e64 v50, v50, v68, s[4:5]
	s_or_b64 s[4:5], s[4:5], vcc
	v_cndmask_b32_e64 v51, v51, 0, s[4:5]
	v_cmp_o_f64_e64 vcc, |v[44:45]|, v[42:43]
	s_or_b64 s[18:19], s[0:1], s[18:19]
	s_nop 0
	v_cndmask_b32_e32 v42, 0, v51, vcc
	v_cndmask_b32_e32 v43, v49, v50, vcc
	v_add_f64 v[6:7], v[6:7], v[42:43]
	s_andn2_b64 exec, exec, s[18:19]
	s_cbranch_execnz .LBB0_8
; %bb.9:
	s_or_b64 exec, exec, s[18:19]
.LBB0_10:
	s_or_b64 exec, exec, s[6:7]
	v_mbcnt_lo_u32_b32 v1, -1, 0
	v_mbcnt_hi_u32_b32 v10, -1, v1
	v_mov_b32_e32 v1, 0x80
	v_lshl_or_b32 v1, v10, 2, v1
	ds_bpermute_b32 v2, v1, v6
	ds_bpermute_b32 v3, v1, v7
	v_and_b32_e32 v12, 63, v10
	v_cmp_gt_u32_e32 vcc, 48, v12
	v_and_b32_e32 v11, 63, v0
	s_waitcnt lgkmcnt(0)
	v_cndmask_b32_e64 v4, 0, 16, vcc
	v_add_f64 v[2:3], v[6:7], v[2:3]
	v_add_lshl_u32 v6, v4, v10, 2
	ds_bpermute_b32 v4, v6, v2
	ds_bpermute_b32 v5, v6, v3
	v_cmp_gt_u32_e32 vcc, 56, v12
	s_barrier
	s_waitcnt lgkmcnt(0)
	v_add_f64 v[2:3], v[2:3], v[4:5]
	v_cndmask_b32_e64 v4, 0, 8, vcc
	v_add_lshl_u32 v7, v4, v10, 2
	ds_bpermute_b32 v4, v7, v2
	ds_bpermute_b32 v5, v7, v3
	v_cmp_gt_u32_e32 vcc, 60, v12
	s_waitcnt lgkmcnt(0)
	v_add_f64 v[2:3], v[2:3], v[4:5]
	v_cndmask_b32_e64 v4, 0, 4, vcc
	v_add_lshl_u32 v8, v4, v10, 2
	ds_bpermute_b32 v4, v8, v2
	ds_bpermute_b32 v5, v8, v3
	v_cmp_gt_u32_e32 vcc, 62, v12
	s_waitcnt lgkmcnt(0)
	v_add_f64 v[2:3], v[2:3], v[4:5]
	v_cndmask_b32_e64 v4, 0, 2, vcc
	v_add_lshl_u32 v9, v4, v10, 2
	ds_bpermute_b32 v4, v9, v2
	ds_bpermute_b32 v5, v9, v3
	v_cmp_ne_u32_e32 vcc, 63, v12
	s_waitcnt lgkmcnt(0)
	v_add_f64 v[2:3], v[2:3], v[4:5]
	v_addc_co_u32_e32 v4, vcc, 0, v10, vcc
	v_lshlrev_b32_e32 v10, 2, v4
	ds_bpermute_b32 v4, v10, v2
	ds_bpermute_b32 v5, v10, v3
	v_cmp_eq_u32_e32 vcc, 0, v11
	s_and_saveexec_b64 s[0:1], vcc
	s_cbranch_execz .LBB0_12
; %bb.11:
	v_lshrrev_b32_e32 v12, 3, v0
	s_waitcnt lgkmcnt(0)
	v_add_f64 v[2:3], v[2:3], v[4:5]
	ds_write_b64 v12, v[2:3]
.LBB0_12:
	s_or_b64 exec, exec, s[0:1]
	s_and_b32 s0, 0xffff, s33
	s_lshr_b32 s0, s0, 6
	v_cmp_gt_u32_e32 vcc, s0, v0
	v_mov_b64_e32 v[2:3], 0
	s_waitcnt lgkmcnt(0)
	s_barrier
	s_and_saveexec_b64 s[0:1], vcc
	s_cbranch_execnz .LBB0_16
; %bb.13:
	s_or_b64 exec, exec, s[0:1]
	v_cmp_gt_u32_e32 vcc, 64, v0
	s_and_saveexec_b64 s[0:1], vcc
	s_cbranch_execnz .LBB0_17
.LBB0_14:
	s_or_b64 exec, exec, s[0:1]
	v_cmp_eq_u32_e32 vcc, 0, v0
	s_and_saveexec_b64 s[0:1], vcc
	s_cbranch_execnz .LBB0_18
.LBB0_15:
	s_endpgm
.LBB0_16:
	v_lshlrev_b32_e32 v2, 3, v11
	ds_read_b64 v[2:3], v2
	s_or_b64 exec, exec, s[0:1]
	v_cmp_gt_u32_e32 vcc, 64, v0
	s_and_saveexec_b64 s[0:1], vcc
	s_cbranch_execz .LBB0_14
.LBB0_17:
	s_waitcnt lgkmcnt(0)
	ds_bpermute_b32 v4, v1, v2
	ds_bpermute_b32 v5, v1, v3
	s_waitcnt lgkmcnt(0)
	v_add_f64 v[2:3], v[2:3], v[4:5]
	ds_bpermute_b32 v4, v6, v2
	ds_bpermute_b32 v5, v6, v3
	s_waitcnt lgkmcnt(0)
	v_add_f64 v[2:3], v[2:3], v[4:5]
	;; [unrolled: 4-line block ×6, first 2 shown]
	s_or_b64 exec, exec, s[0:1]
	v_cmp_eq_u32_e32 vcc, 0, v0
	s_and_saveexec_b64 s[0:1], vcc
	s_cbranch_execz .LBB0_15
.LBB0_18:
	v_div_scale_f64 v[0:1], s[0:1], s[14:15], s[14:15], 1.0
	v_rcp_f64_e32 v[4:5], v[0:1]
	v_div_scale_f64 v[6:7], vcc, 1.0, s[14:15], 1.0
	s_mov_b32 s1, 0x3fe55555
	v_fma_f64 v[8:9], -v[0:1], v[4:5], 1.0
	v_fmac_f64_e32 v[4:5], v[4:5], v[8:9]
	v_fma_f64 v[8:9], -v[0:1], v[4:5], 1.0
	v_fmac_f64_e32 v[4:5], v[4:5], v[8:9]
	v_mul_f64 v[8:9], v[6:7], v[4:5]
	v_fma_f64 v[0:1], -v[0:1], v[8:9], v[6:7]
	v_div_fmas_f64 v[0:1], v[0:1], v[4:5], v[8:9]
	v_div_fixup_f64 v[0:1], v[0:1], s[14:15], 1.0
	v_mov_b32_e32 v4, 0x3ff00000
	s_waitcnt lgkmcnt(0)
	v_cmp_neq_f64_e32 vcc, 1.0, v[2:3]
	s_mov_b32 s0, 0x55555555
	s_mov_b32 s4, 0x4222de17
	v_cndmask_b32_e32 v1, v4, v1, vcc
	v_cndmask_b32_e32 v0, 0, v0, vcc
	v_cmp_neq_f64_e32 vcc, 0, v[0:1]
	s_mov_b32 s5, 0x3fbdee67
	s_mov_b32 s7, 0x3c7abc9e
	v_cndmask_b32_e32 v3, v4, v3, vcc
	v_cndmask_b32_e32 v2, 0, v2, vcc
	v_frexp_mant_f64_e64 v[6:7], |v[2:3]|
	v_cmp_gt_f64_e32 vcc, s[0:1], v[6:7]
	v_frexp_exp_i32_f64_e32 v5, v[2:3]
	s_mov_b32 s6, 0x3b39803f
	v_cndmask_b32_e64 v8, 0, 1, vcc
	v_ldexp_f64 v[6:7], v[6:7], v8
	v_add_f64 v[8:9], v[6:7], 1.0
	v_rcp_f64_e32 v[10:11], v[8:9]
	v_add_f64 v[14:15], v[8:9], -1.0
	v_add_f64 v[12:13], v[6:7], -1.0
	v_add_f64 v[6:7], v[6:7], -v[14:15]
	v_fma_f64 v[14:15], -v[8:9], v[10:11], 1.0
	v_fmac_f64_e32 v[10:11], v[14:15], v[10:11]
	v_fma_f64 v[14:15], -v[8:9], v[10:11], 1.0
	v_fmac_f64_e32 v[10:11], v[14:15], v[10:11]
	v_mul_f64 v[14:15], v[12:13], v[10:11]
	v_mul_f64 v[16:17], v[8:9], v[14:15]
	v_fma_f64 v[8:9], v[14:15], v[8:9], -v[16:17]
	v_fmac_f64_e32 v[8:9], v[14:15], v[6:7]
	v_add_f64 v[6:7], v[16:17], v[8:9]
	v_add_f64 v[18:19], v[12:13], -v[6:7]
	v_add_f64 v[16:17], v[6:7], -v[16:17]
	;; [unrolled: 1-line block ×5, first 2 shown]
	v_add_f64 v[6:7], v[8:9], v[6:7]
	v_add_f64 v[6:7], v[18:19], v[6:7]
	v_mul_f64 v[6:7], v[10:11], v[6:7]
	v_add_f64 v[8:9], v[14:15], v[6:7]
	v_add_f64 v[10:11], v[8:9], -v[14:15]
	v_add_f64 v[6:7], v[6:7], -v[10:11]
	v_mul_f64 v[10:11], v[8:9], v[8:9]
	v_fma_f64 v[12:13], v[8:9], v[8:9], -v[10:11]
	v_add_f64 v[14:15], v[6:7], v[6:7]
	v_fmac_f64_e32 v[12:13], v[8:9], v[14:15]
	v_add_f64 v[14:15], v[10:11], v[12:13]
	v_add_f64 v[10:11], v[14:15], -v[10:11]
	v_add_f64 v[10:11], v[12:13], -v[10:11]
	v_mov_b32_e32 v12, 0x968915a9
	v_mov_b32_e32 v13, 0x3fba6564
	v_fmac_f64_e32 v[12:13], s[4:5], v[14:15]
	v_mov_b32_e32 v16, 0x3abe935a
	v_mov_b32_e32 v17, 0x3fbe25e4
	v_fmac_f64_e32 v[16:17], v[14:15], v[12:13]
	v_mov_b32_e32 v12, 0x47e6c9c2
	v_mov_b32_e32 v13, 0x3fc110ef
	v_fmac_f64_e32 v[12:13], v[14:15], v[16:17]
	v_mov_b32_e32 v16, 0xcfa74449
	v_mov_b32_e32 v17, 0x3fc3b13b
	v_fmac_f64_e32 v[16:17], v[14:15], v[12:13]
	v_mov_b32_e32 v12, 0x71bf3c30
	v_mov_b32_e32 v13, 0x3fc745d1
	v_fmac_f64_e32 v[12:13], v[14:15], v[16:17]
	v_mov_b32_e32 v16, 0x1c7792ce
	v_mov_b32_e32 v17, 0x3fcc71c7
	v_fmac_f64_e32 v[16:17], v[14:15], v[12:13]
	v_mov_b32_e32 v12, 0x924920da
	v_mov_b32_e32 v13, 0x3fd24924
	v_subbrev_co_u32_e32 v5, vcc, 0, v5, vcc
	v_fmac_f64_e32 v[12:13], v[14:15], v[16:17]
	v_mov_b32_e32 v16, 0x9999999c
	v_mov_b32_e32 v17, 0x3fd99999
	v_fmac_f64_e32 v[16:17], v[14:15], v[12:13]
	v_cvt_f64_i32_e32 v[12:13], v5
	s_mov_b32 s5, 0x3fe62e42
	s_mov_b32 s4, 0xfefa39ef
	v_mul_f64 v[18:19], v[12:13], s[4:5]
	v_mul_f64 v[24:25], v[8:9], v[14:15]
	v_fma_f64 v[20:21], v[12:13], s[4:5], -v[18:19]
	v_fma_f64 v[26:27], v[14:15], v[8:9], -v[24:25]
	v_fmac_f64_e32 v[20:21], s[6:7], v[12:13]
	v_fmac_f64_e32 v[26:27], v[14:15], v[6:7]
	v_add_f64 v[12:13], v[18:19], v[20:21]
	v_fmac_f64_e32 v[26:27], v[10:11], v[8:9]
	v_add_f64 v[18:19], v[12:13], -v[18:19]
	v_ldexp_f64 v[22:23], v[6:7], 1
	v_add_f64 v[6:7], v[24:25], v[26:27]
	v_add_f64 v[18:19], v[20:21], -v[18:19]
	v_ldexp_f64 v[20:21], v[8:9], 1
	v_add_f64 v[8:9], v[6:7], -v[24:25]
	v_mul_f64 v[24:25], v[14:15], v[16:17]
	v_fma_f64 v[14:15], v[14:15], v[16:17], -v[24:25]
	v_fmac_f64_e32 v[14:15], v[10:11], v[16:17]
	v_add_f64 v[10:11], v[24:25], v[14:15]
	v_add_f64 v[16:17], v[10:11], -v[24:25]
	v_add_f64 v[14:15], v[14:15], -v[16:17]
	v_add_f64 v[16:17], v[10:11], s[0:1]
	s_mov_b32 s1, 0xbfe55555
	v_add_f64 v[24:25], v[16:17], s[0:1]
	s_mov_b32 s0, 0xd5df274d
	s_mov_b32 s1, 0x3c8543b0
	v_add_f64 v[10:11], v[10:11], -v[24:25]
	v_add_f64 v[14:15], v[14:15], s[0:1]
	v_add_f64 v[10:11], v[14:15], v[10:11]
	;; [unrolled: 1-line block ×3, first 2 shown]
	v_add_f64 v[16:17], v[16:17], -v[14:15]
	v_add_f64 v[10:11], v[10:11], v[16:17]
	v_mul_f64 v[16:17], v[6:7], v[14:15]
	v_fma_f64 v[24:25], v[6:7], v[14:15], -v[16:17]
	v_add_f64 v[8:9], v[26:27], -v[8:9]
	v_fmac_f64_e32 v[24:25], v[6:7], v[10:11]
	v_fmac_f64_e32 v[24:25], v[8:9], v[14:15]
	v_add_f64 v[6:7], v[16:17], v[24:25]
	v_add_f64 v[8:9], v[6:7], -v[16:17]
	v_add_f64 v[10:11], v[20:21], v[6:7]
	v_add_f64 v[8:9], v[24:25], -v[8:9]
	v_add_f64 v[14:15], v[10:11], -v[20:21]
	;; [unrolled: 1-line block ×3, first 2 shown]
	v_add_f64 v[8:9], v[22:23], v[8:9]
	v_add_f64 v[6:7], v[8:9], v[6:7]
	v_add_f64 v[8:9], v[10:11], v[6:7]
	v_add_f64 v[10:11], v[8:9], -v[10:11]
	v_add_f64 v[6:7], v[6:7], -v[10:11]
	v_add_f64 v[10:11], v[12:13], v[8:9]
	v_add_f64 v[14:15], v[10:11], -v[12:13]
	v_add_f64 v[16:17], v[10:11], -v[14:15]
	;; [unrolled: 1-line block ×4, first 2 shown]
	v_add_f64 v[8:9], v[8:9], v[12:13]
	v_add_f64 v[12:13], v[18:19], v[6:7]
	v_add_f64 v[14:15], v[12:13], -v[18:19]
	v_add_f64 v[8:9], v[12:13], v[8:9]
	v_add_f64 v[16:17], v[12:13], -v[14:15]
	;; [unrolled: 2-line block ×3, first 2 shown]
	v_add_f64 v[6:7], v[6:7], -v[14:15]
	v_add_f64 v[10:11], v[12:13], -v[10:11]
	v_add_f64 v[6:7], v[6:7], v[16:17]
	v_add_f64 v[8:9], v[8:9], -v[10:11]
	v_add_f64 v[6:7], v[6:7], v[8:9]
	v_add_f64 v[8:9], v[12:13], v[6:7]
	v_add_f64 v[10:11], v[8:9], -v[12:13]
	v_add_f64 v[6:7], v[6:7], -v[10:11]
	v_mul_f64 v[10:11], v[0:1], v[8:9]
	v_fma_f64 v[8:9], v[0:1], v[8:9], -v[10:11]
	v_fmac_f64_e32 v[8:9], v[0:1], v[6:7]
	s_movk_i32 s10, 0x204
	v_add_f64 v[6:7], v[10:11], v[8:9]
	v_cmp_class_f64_e64 vcc, v[10:11], s10
	s_mov_b32 s0, 0
	v_add_f64 v[12:13], v[6:7], -v[10:11]
	v_cndmask_b32_e32 v7, v7, v11, vcc
	v_cndmask_b32_e32 v6, v6, v10, vcc
	s_mov_b32 s1, 0x7ff00000
	v_cmp_neq_f64_e64 vcc, |v[6:7]|, s[0:1]
	s_mov_b32 s0, 0x652b82fe
	s_mov_b32 s1, 0x3ff71547
	v_mul_f64 v[10:11], v[6:7], s[0:1]
	v_rndne_f64_e32 v[10:11], v[10:11]
	s_mov_b32 s5, 0xbfe62e42
	v_add_f64 v[8:9], v[8:9], -v[12:13]
	v_fma_f64 v[12:13], s[4:5], v[10:11], v[6:7]
	s_mov_b32 s7, 0xbc7abc9e
	s_mov_b32 s0, 0x6a5dcb37
	v_fmac_f64_e32 v[12:13], s[6:7], v[10:11]
	v_mov_b32_e32 v14, 0xfca7ab0c
	v_mov_b32_e32 v15, 0x3e928af3
	s_mov_b32 s1, 0x3e5ade15
	v_fmac_f64_e32 v[14:15], s[0:1], v[12:13]
	v_mov_b32_e32 v16, 0x623fde64
	v_mov_b32_e32 v17, 0x3ec71dee
	v_fmac_f64_e32 v[16:17], v[12:13], v[14:15]
	v_mov_b32_e32 v14, 0x7c89e6b0
	v_mov_b32_e32 v15, 0x3efa0199
	;; [unrolled: 3-line block ×8, first 2 shown]
	s_mov_b32 s0, 0
	v_fmac_f64_e32 v[14:15], v[12:13], v[16:17]
	s_mov_b32 s1, 0x40900000
	v_cndmask_b32_e32 v9, 0, v9, vcc
	v_cndmask_b32_e32 v8, 0, v8, vcc
	v_fma_f64 v[14:15], v[12:13], v[14:15], 1.0
	v_cmp_nlt_f64_e32 vcc, s[0:1], v[6:7]
	s_mov_b32 s0, 0
	v_fma_f64 v[12:13], v[12:13], v[14:15], 1.0
	v_cvt_i32_f64_e32 v5, v[10:11]
	s_mov_b32 s1, 0xc090cc00
	v_ldexp_f64 v[10:11], v[12:13], v5
	v_mov_b32_e32 v5, 0x7ff00000
	v_cmp_ngt_f64_e64 s[0:1], s[0:1], v[6:7]
	v_cndmask_b32_e32 v11, v5, v11, vcc
	s_and_b64 vcc, s[0:1], vcc
	v_cndmask_b32_e64 v7, 0, v11, s[0:1]
	v_cndmask_b32_e32 v6, 0, v10, vcc
	v_mov_b64_e32 v[10:11], v[6:7]
	v_fmac_f64_e32 v[10:11], v[10:11], v[8:9]
	v_cmp_class_f64_e64 vcc, v[6:7], s10
	s_brev_b32 s12, -2
	v_mov_b32_e32 v12, 0x7ff80000
	v_cndmask_b32_e32 v10, v10, v6, vcc
	v_cndmask_b32_e32 v11, v11, v7, vcc
	v_trunc_f64_e32 v[6:7], v[0:1]
	v_cmp_eq_f64_e32 vcc, v[6:7], v[0:1]
	v_mul_f64 v[6:7], v[0:1], 0.5
	v_trunc_f64_e32 v[8:9], v[6:7]
	v_cmp_neq_f64_e64 s[0:1], v[8:9], v[6:7]
	s_and_b64 s[0:1], vcc, s[0:1]
	v_cmp_neq_f64_e64 s[4:5], v[0:1], |v[0:1]|
	v_cndmask_b32_e64 v6, v4, v3, s[0:1]
	v_bfi_b32 v6, s12, v11, v6
	v_cmp_lt_f64_e64 s[6:7], |v[2:3]|, 1.0
	v_cndmask_b32_e32 v7, v12, v6, vcc
	v_cndmask_b32_e32 v8, 0, v10, vcc
	v_cmp_gt_f64_e32 vcc, 0, v[2:3]
	s_xor_b64 s[4:5], s[4:5], s[6:7]
	v_cmp_gt_f64_e64 s[6:7], 0, v[0:1]
	v_cndmask_b32_e32 v8, v10, v8, vcc
	v_cndmask_b32_e32 v6, v6, v7, vcc
	v_cndmask_b32_e64 v7, v5, 0, s[4:5]
	v_cmp_neq_f64_e64 vcc, |v[2:3]|, 1.0
	v_cmp_eq_f64_e64 s[4:5], 0, v[2:3]
	s_xor_b64 s[6:7], s[6:7], s[4:5]
	v_cndmask_b32_e32 v4, v4, v7, vcc
	v_cmp_class_f64_e64 vcc, v[0:1], s10
	v_cmp_class_f64_e64 s[10:11], v[2:3], s10
	v_cndmask_b32_e64 v5, v5, 0, s[6:7]
	v_cndmask_b32_e32 v4, v6, v4, vcc
	v_cndmask_b32_e64 v6, 0, v3, s[0:1]
	v_bfi_b32 v5, s12, v5, v6
	s_or_b64 s[0:1], s[4:5], s[10:11]
	v_cndmask_b32_e64 v4, v4, v5, s[0:1]
	s_or_b64 s[0:1], s[0:1], vcc
	v_cndmask_b32_e64 v5, v8, 0, s[0:1]
	s_lshl_b64 s[0:1], s[2:3], 3
	v_cmp_o_f64_e32 vcc, v[2:3], v[0:1]
	s_add_u32 s0, s8, s0
	s_addc_u32 s1, s9, s1
	v_cndmask_b32_e32 v0, 0, v5, vcc
	v_cndmask_b32_e32 v1, v12, v4, vcc
	v_mov_b32_e32 v2, 0
	global_store_dwordx2 v2, v[0:1], s[0:1]
	s_endpgm
.LBB0_19:
                                        ; implicit-def: $sgpr4_sgpr5
	s_branch .LBB0_2
.LBB0_20:
                                        ; implicit-def: $sgpr26_sgpr27
	s_branch .LBB0_5
	.section	.rodata,"a",@progbits
	.p2align	6, 0x0
	.amdhsa_kernel _ZN2at6native12_GLOBAL__N_122cdist_kernel_cuda_implIdNS1_5distsIdE1pEEEvPT_PKS6_S9_S6_lllll
		.amdhsa_group_segment_fixed_size 2048
		.amdhsa_private_segment_fixed_size 0
		.amdhsa_kernarg_size 328
		.amdhsa_user_sgpr_count 2
		.amdhsa_user_sgpr_dispatch_ptr 0
		.amdhsa_user_sgpr_queue_ptr 0
		.amdhsa_user_sgpr_kernarg_segment_ptr 1
		.amdhsa_user_sgpr_dispatch_id 0
		.amdhsa_user_sgpr_kernarg_preload_length 0
		.amdhsa_user_sgpr_kernarg_preload_offset 0
		.amdhsa_user_sgpr_private_segment_size 0
		.amdhsa_uses_dynamic_stack 0
		.amdhsa_enable_private_segment 0
		.amdhsa_system_sgpr_workgroup_id_x 1
		.amdhsa_system_sgpr_workgroup_id_y 0
		.amdhsa_system_sgpr_workgroup_id_z 0
		.amdhsa_system_sgpr_workgroup_info 0
		.amdhsa_system_vgpr_workitem_id 0
		.amdhsa_next_free_vgpr 70
		.amdhsa_next_free_sgpr 62
		.amdhsa_accum_offset 72
		.amdhsa_reserve_vcc 1
		.amdhsa_float_round_mode_32 0
		.amdhsa_float_round_mode_16_64 0
		.amdhsa_float_denorm_mode_32 3
		.amdhsa_float_denorm_mode_16_64 3
		.amdhsa_dx10_clamp 1
		.amdhsa_ieee_mode 1
		.amdhsa_fp16_overflow 0
		.amdhsa_tg_split 0
		.amdhsa_exception_fp_ieee_invalid_op 0
		.amdhsa_exception_fp_denorm_src 0
		.amdhsa_exception_fp_ieee_div_zero 0
		.amdhsa_exception_fp_ieee_overflow 0
		.amdhsa_exception_fp_ieee_underflow 0
		.amdhsa_exception_fp_ieee_inexact 0
		.amdhsa_exception_int_div_zero 0
	.end_amdhsa_kernel
	.section	.text._ZN2at6native12_GLOBAL__N_122cdist_kernel_cuda_implIdNS1_5distsIdE1pEEEvPT_PKS6_S9_S6_lllll,"axG",@progbits,_ZN2at6native12_GLOBAL__N_122cdist_kernel_cuda_implIdNS1_5distsIdE1pEEEvPT_PKS6_S9_S6_lllll,comdat
.Lfunc_end0:
	.size	_ZN2at6native12_GLOBAL__N_122cdist_kernel_cuda_implIdNS1_5distsIdE1pEEEvPT_PKS6_S9_S6_lllll, .Lfunc_end0-_ZN2at6native12_GLOBAL__N_122cdist_kernel_cuda_implIdNS1_5distsIdE1pEEEvPT_PKS6_S9_S6_lllll
                                        ; -- End function
	.set _ZN2at6native12_GLOBAL__N_122cdist_kernel_cuda_implIdNS1_5distsIdE1pEEEvPT_PKS6_S9_S6_lllll.num_vgpr, 70
	.set _ZN2at6native12_GLOBAL__N_122cdist_kernel_cuda_implIdNS1_5distsIdE1pEEEvPT_PKS6_S9_S6_lllll.num_agpr, 0
	.set _ZN2at6native12_GLOBAL__N_122cdist_kernel_cuda_implIdNS1_5distsIdE1pEEEvPT_PKS6_S9_S6_lllll.numbered_sgpr, 62
	.set _ZN2at6native12_GLOBAL__N_122cdist_kernel_cuda_implIdNS1_5distsIdE1pEEEvPT_PKS6_S9_S6_lllll.num_named_barrier, 0
	.set _ZN2at6native12_GLOBAL__N_122cdist_kernel_cuda_implIdNS1_5distsIdE1pEEEvPT_PKS6_S9_S6_lllll.private_seg_size, 0
	.set _ZN2at6native12_GLOBAL__N_122cdist_kernel_cuda_implIdNS1_5distsIdE1pEEEvPT_PKS6_S9_S6_lllll.uses_vcc, 1
	.set _ZN2at6native12_GLOBAL__N_122cdist_kernel_cuda_implIdNS1_5distsIdE1pEEEvPT_PKS6_S9_S6_lllll.uses_flat_scratch, 0
	.set _ZN2at6native12_GLOBAL__N_122cdist_kernel_cuda_implIdNS1_5distsIdE1pEEEvPT_PKS6_S9_S6_lllll.has_dyn_sized_stack, 0
	.set _ZN2at6native12_GLOBAL__N_122cdist_kernel_cuda_implIdNS1_5distsIdE1pEEEvPT_PKS6_S9_S6_lllll.has_recursion, 0
	.set _ZN2at6native12_GLOBAL__N_122cdist_kernel_cuda_implIdNS1_5distsIdE1pEEEvPT_PKS6_S9_S6_lllll.has_indirect_call, 0
	.section	.AMDGPU.csdata,"",@progbits
; Kernel info:
; codeLenInByte = 5924
; TotalNumSgprs: 68
; NumVgprs: 70
; NumAgprs: 0
; TotalNumVgprs: 70
; ScratchSize: 0
; MemoryBound: 0
; FloatMode: 240
; IeeeMode: 1
; LDSByteSize: 2048 bytes/workgroup (compile time only)
; SGPRBlocks: 8
; VGPRBlocks: 8
; NumSGPRsForWavesPerEU: 68
; NumVGPRsForWavesPerEU: 70
; AccumOffset: 72
; Occupancy: 7
; WaveLimiterHint : 0
; COMPUTE_PGM_RSRC2:SCRATCH_EN: 0
; COMPUTE_PGM_RSRC2:USER_SGPR: 2
; COMPUTE_PGM_RSRC2:TRAP_HANDLER: 0
; COMPUTE_PGM_RSRC2:TGID_X_EN: 1
; COMPUTE_PGM_RSRC2:TGID_Y_EN: 0
; COMPUTE_PGM_RSRC2:TGID_Z_EN: 0
; COMPUTE_PGM_RSRC2:TIDIG_COMP_CNT: 0
; COMPUTE_PGM_RSRC3_GFX90A:ACCUM_OFFSET: 17
; COMPUTE_PGM_RSRC3_GFX90A:TG_SPLIT: 0
	.section	.text._ZN2at6native12_GLOBAL__N_122cdist_kernel_cuda_implIdNS1_5distsIdE4zeroEEEvPT_PKS6_S9_S6_lllll,"axG",@progbits,_ZN2at6native12_GLOBAL__N_122cdist_kernel_cuda_implIdNS1_5distsIdE4zeroEEEvPT_PKS6_S9_S6_lllll,comdat
	.globl	_ZN2at6native12_GLOBAL__N_122cdist_kernel_cuda_implIdNS1_5distsIdE4zeroEEEvPT_PKS6_S9_S6_lllll ; -- Begin function _ZN2at6native12_GLOBAL__N_122cdist_kernel_cuda_implIdNS1_5distsIdE4zeroEEEvPT_PKS6_S9_S6_lllll
	.p2align	8
	.type	_ZN2at6native12_GLOBAL__N_122cdist_kernel_cuda_implIdNS1_5distsIdE4zeroEEEvPT_PKS6_S9_S6_lllll,@function
_ZN2at6native12_GLOBAL__N_122cdist_kernel_cuda_implIdNS1_5distsIdE4zeroEEEvPT_PKS6_S9_S6_lllll: ; @_ZN2at6native12_GLOBAL__N_122cdist_kernel_cuda_implIdNS1_5distsIdE4zeroEEEvPT_PKS6_S9_S6_lllll
; %bb.0:
	s_load_dwordx8 s[4:11], s[0:1], 0x20
	s_load_dwordx2 s[16:17], s[0:1], 0x40
	s_mov_b32 s3, 0
	s_mov_b32 s12, s3
	s_waitcnt lgkmcnt(0)
	s_mov_b32 s13, s9
	s_cmp_lg_u64 s[12:13], 0
	s_cbranch_scc0 .LBB1_23
; %bb.1:
	s_ashr_i32 s12, s9, 31
	s_add_u32 s14, s8, s12
	s_mov_b32 s13, s12
	s_addc_u32 s15, s9, s12
	s_xor_b64 s[18:19], s[14:15], s[12:13]
	v_cvt_f32_u32_e32 v1, s18
	v_cvt_f32_u32_e32 v2, s19
	s_sub_u32 s22, 0, s18
	s_subb_u32 s23, 0, s19
	v_fmamk_f32 v1, v2, 0x4f800000, v1
	v_rcp_f32_e32 v1, v1
	s_nop 0
	v_mul_f32_e32 v1, 0x5f7ffffc, v1
	v_mul_f32_e32 v2, 0x2f800000, v1
	v_trunc_f32_e32 v2, v2
	v_fmamk_f32 v1, v2, 0xcf800000, v1
	v_cvt_u32_f32_e32 v2, v2
	v_cvt_u32_f32_e32 v1, v1
	v_readfirstlane_b32 s24, v2
	v_readfirstlane_b32 s20, v1
	s_mul_i32 s21, s22, s24
	s_mul_hi_u32 s26, s22, s20
	s_mul_i32 s25, s23, s20
	s_add_i32 s21, s26, s21
	s_add_i32 s21, s21, s25
	s_mul_i32 s27, s22, s20
	s_mul_i32 s26, s20, s21
	s_mul_hi_u32 s28, s20, s27
	s_mul_hi_u32 s25, s20, s21
	s_add_u32 s26, s28, s26
	s_addc_u32 s25, 0, s25
	s_mul_hi_u32 s29, s24, s27
	s_mul_i32 s27, s24, s27
	s_add_u32 s26, s26, s27
	s_mul_hi_u32 s28, s24, s21
	s_addc_u32 s25, s25, s29
	s_addc_u32 s26, s28, 0
	s_mul_i32 s21, s24, s21
	s_add_u32 s21, s25, s21
	s_addc_u32 s25, 0, s26
	s_add_u32 s26, s20, s21
	s_cselect_b64 s[20:21], -1, 0
	s_cmp_lg_u64 s[20:21], 0
	s_addc_u32 s24, s24, s25
	s_mul_i32 s20, s22, s24
	s_mul_hi_u32 s21, s22, s26
	s_add_i32 s20, s21, s20
	s_mul_i32 s23, s23, s26
	s_add_i32 s20, s20, s23
	s_mul_i32 s22, s22, s26
	s_mul_hi_u32 s23, s24, s22
	s_mul_i32 s25, s24, s22
	s_mul_i32 s28, s26, s20
	s_mul_hi_u32 s22, s26, s22
	s_mul_hi_u32 s27, s26, s20
	s_add_u32 s22, s22, s28
	s_addc_u32 s27, 0, s27
	s_add_u32 s22, s22, s25
	s_mul_hi_u32 s21, s24, s20
	s_addc_u32 s22, s27, s23
	s_addc_u32 s21, s21, 0
	s_mul_i32 s20, s24, s20
	s_add_u32 s20, s22, s20
	s_addc_u32 s22, 0, s21
	s_add_u32 s23, s26, s20
	s_cselect_b64 s[20:21], -1, 0
	s_cmp_lg_u64 s[20:21], 0
	s_addc_u32 s22, s24, s22
	s_add_u32 s20, s2, 0
	s_addc_u32 s21, 0, 0
	s_xor_b64 s[20:21], s[20:21], 0
	s_mul_i32 s25, s20, s22
	s_mul_hi_u32 s26, s20, s23
	s_mul_hi_u32 s24, s20, s22
	s_add_u32 s25, s26, s25
	s_addc_u32 s24, 0, s24
	s_mul_hi_u32 s27, s21, s23
	s_mul_i32 s23, s21, s23
	s_add_u32 s23, s25, s23
	s_mul_hi_u32 s26, s21, s22
	s_addc_u32 s23, s24, s27
	s_addc_u32 s24, s26, 0
	s_mul_i32 s22, s21, s22
	s_add_u32 s26, s23, s22
	s_addc_u32 s27, 0, s24
	s_mul_i32 s22, s18, s27
	s_mul_hi_u32 s23, s18, s26
	s_add_i32 s22, s23, s22
	s_mul_i32 s23, s19, s26
	s_add_i32 s28, s22, s23
	s_sub_i32 s24, s21, s28
	s_mul_i32 s22, s18, s26
	s_sub_u32 s20, s20, s22
	s_cselect_b64 s[22:23], -1, 0
	s_cmp_lg_u64 s[22:23], 0
	s_subb_u32 s29, s24, s19
	s_sub_u32 s30, s20, s18
	s_cselect_b64 s[24:25], -1, 0
	s_cmp_lg_u64 s[24:25], 0
	s_subb_u32 s24, s29, 0
	s_cmp_ge_u32 s24, s19
	s_cselect_b32 s25, -1, 0
	s_cmp_ge_u32 s30, s18
	s_cselect_b32 s29, -1, 0
	s_cmp_eq_u32 s24, s19
	s_cselect_b32 s24, s29, s25
	s_add_u32 s25, s26, 1
	s_addc_u32 s29, s27, 0
	s_add_u32 s30, s26, 2
	s_addc_u32 s31, s27, 0
	s_cmp_lg_u32 s24, 0
	s_cselect_b32 s24, s30, s25
	s_cselect_b32 s25, s31, s29
	s_cmp_lg_u64 s[22:23], 0
	s_subb_u32 s21, s21, s28
	s_cmp_ge_u32 s21, s19
	s_cselect_b32 s22, -1, 0
	s_cmp_ge_u32 s20, s18
	s_cselect_b32 s18, -1, 0
	s_cmp_eq_u32 s21, s19
	s_cselect_b32 s18, s18, s22
	s_cmp_lg_u32 s18, 0
	s_cselect_b32 s19, s25, s27
	s_cselect_b32 s18, s24, s26
	s_xor_b64 s[12:13], 0, s[12:13]
	s_xor_b64 s[18:19], s[18:19], s[12:13]
	s_sub_u32 s18, s18, s12
	s_subb_u32 s19, s19, s13
	s_cbranch_execnz .LBB1_3
.LBB1_2:
	v_cvt_f32_u32_e32 v1, s8
	s_sub_i32 s12, 0, s8
	s_mov_b32 s19, 0
	v_rcp_iflag_f32_e32 v1, v1
	s_nop 0
	v_mul_f32_e32 v1, 0x4f7ffffe, v1
	v_cvt_u32_f32_e32 v1, v1
	s_nop 0
	v_readfirstlane_b32 s13, v1
	s_mul_i32 s12, s12, s13
	s_mul_hi_u32 s12, s13, s12
	s_add_i32 s13, s13, s12
	s_mul_hi_u32 s12, s2, s13
	s_mul_i32 s14, s12, s8
	s_sub_i32 s14, s2, s14
	s_add_i32 s13, s12, 1
	s_sub_i32 s15, s14, s8
	s_cmp_ge_u32 s14, s8
	s_cselect_b32 s12, s13, s12
	s_cselect_b32 s14, s15, s14
	s_add_i32 s13, s12, 1
	s_cmp_ge_u32 s14, s8
	s_cselect_b32 s18, s13, s12
.LBB1_3:
	s_mul_i32 s9, s18, s9
	s_mul_hi_u32 s12, s18, s8
	s_add_i32 s9, s12, s9
	s_mul_i32 s12, s19, s8
	s_add_i32 s9, s9, s12
	s_mul_i32 s8, s18, s8
	s_sub_u32 s8, s2, s8
	s_subb_u32 s9, 0, s9
	s_or_b64 s[12:13], s[8:9], s[4:5]
	s_mov_b32 s12, 0
	s_cmp_lg_u64 s[12:13], 0
	s_cbranch_scc0 .LBB1_24
; %bb.4:
	s_ashr_i32 s12, s5, 31
	s_add_u32 s14, s4, s12
	s_mov_b32 s13, s12
	s_addc_u32 s15, s5, s12
	s_xor_b64 s[20:21], s[14:15], s[12:13]
	v_cvt_f32_u32_e32 v1, s20
	v_cvt_f32_u32_e32 v2, s21
	s_sub_u32 s24, 0, s20
	s_subb_u32 s25, 0, s21
	v_fmamk_f32 v1, v2, 0x4f800000, v1
	v_rcp_f32_e32 v1, v1
	s_nop 0
	v_mul_f32_e32 v1, 0x5f7ffffc, v1
	v_mul_f32_e32 v2, 0x2f800000, v1
	v_trunc_f32_e32 v2, v2
	v_fmamk_f32 v1, v2, 0xcf800000, v1
	v_cvt_u32_f32_e32 v2, v2
	v_cvt_u32_f32_e32 v1, v1
	v_readfirstlane_b32 s26, v2
	v_readfirstlane_b32 s22, v1
	s_mul_i32 s23, s24, s26
	s_mul_hi_u32 s28, s24, s22
	s_mul_i32 s27, s25, s22
	s_add_i32 s23, s28, s23
	s_add_i32 s23, s23, s27
	s_mul_i32 s29, s24, s22
	s_mul_i32 s28, s22, s23
	s_mul_hi_u32 s30, s22, s29
	s_mul_hi_u32 s27, s22, s23
	s_add_u32 s28, s30, s28
	s_addc_u32 s27, 0, s27
	s_mul_hi_u32 s31, s26, s29
	s_mul_i32 s29, s26, s29
	s_add_u32 s28, s28, s29
	s_mul_hi_u32 s30, s26, s23
	s_addc_u32 s27, s27, s31
	s_addc_u32 s28, s30, 0
	s_mul_i32 s23, s26, s23
	s_add_u32 s23, s27, s23
	s_addc_u32 s27, 0, s28
	s_add_u32 s28, s22, s23
	s_cselect_b64 s[22:23], -1, 0
	s_cmp_lg_u64 s[22:23], 0
	s_addc_u32 s26, s26, s27
	s_mul_i32 s22, s24, s26
	s_mul_hi_u32 s23, s24, s28
	s_add_i32 s22, s23, s22
	s_mul_i32 s25, s25, s28
	s_add_i32 s22, s22, s25
	s_mul_i32 s24, s24, s28
	s_mul_hi_u32 s25, s26, s24
	s_mul_i32 s27, s26, s24
	s_mul_i32 s30, s28, s22
	s_mul_hi_u32 s24, s28, s24
	s_mul_hi_u32 s29, s28, s22
	s_add_u32 s24, s24, s30
	s_addc_u32 s29, 0, s29
	s_add_u32 s24, s24, s27
	s_mul_hi_u32 s23, s26, s22
	s_addc_u32 s24, s29, s25
	s_addc_u32 s23, s23, 0
	s_mul_i32 s22, s26, s22
	s_add_u32 s22, s24, s22
	s_addc_u32 s24, 0, s23
	s_add_u32 s27, s28, s22
	s_cselect_b64 s[22:23], -1, 0
	s_cmp_lg_u64 s[22:23], 0
	s_addc_u32 s26, s26, s24
	s_ashr_i32 s22, s9, 31
	s_add_u32 s24, s8, s22
	s_mov_b32 s23, s22
	s_addc_u32 s25, s9, s22
	s_xor_b64 s[24:25], s[24:25], s[22:23]
	s_mul_i32 s29, s24, s26
	s_mul_hi_u32 s30, s24, s27
	s_mul_hi_u32 s28, s24, s26
	s_add_u32 s29, s30, s29
	s_addc_u32 s28, 0, s28
	s_mul_hi_u32 s31, s25, s27
	s_mul_i32 s27, s25, s27
	s_add_u32 s27, s29, s27
	s_mul_hi_u32 s30, s25, s26
	s_addc_u32 s27, s28, s31
	s_addc_u32 s28, s30, 0
	s_mul_i32 s26, s25, s26
	s_add_u32 s30, s27, s26
	s_addc_u32 s31, 0, s28
	s_mul_i32 s26, s20, s31
	s_mul_hi_u32 s27, s20, s30
	s_add_i32 s26, s27, s26
	s_mul_i32 s27, s21, s30
	s_add_i32 s33, s26, s27
	s_sub_i32 s28, s25, s33
	s_mul_i32 s26, s20, s30
	s_sub_u32 s24, s24, s26
	s_cselect_b64 s[26:27], -1, 0
	s_cmp_lg_u64 s[26:27], 0
	s_subb_u32 s34, s28, s21
	s_sub_u32 s35, s24, s20
	s_cselect_b64 s[28:29], -1, 0
	s_cmp_lg_u64 s[28:29], 0
	s_subb_u32 s28, s34, 0
	s_cmp_ge_u32 s28, s21
	s_cselect_b32 s29, -1, 0
	s_cmp_ge_u32 s35, s20
	s_cselect_b32 s34, -1, 0
	s_cmp_eq_u32 s28, s21
	s_cselect_b32 s28, s34, s29
	s_add_u32 s29, s30, 1
	s_addc_u32 s34, s31, 0
	s_add_u32 s35, s30, 2
	s_addc_u32 s36, s31, 0
	s_cmp_lg_u32 s28, 0
	s_cselect_b32 s28, s35, s29
	s_cselect_b32 s29, s36, s34
	s_cmp_lg_u64 s[26:27], 0
	s_subb_u32 s25, s25, s33
	s_cmp_ge_u32 s25, s21
	s_cselect_b32 s26, -1, 0
	s_cmp_ge_u32 s24, s20
	s_cselect_b32 s20, -1, 0
	s_cmp_eq_u32 s25, s21
	s_cselect_b32 s20, s20, s26
	s_cmp_lg_u32 s20, 0
	s_cselect_b32 s21, s29, s31
	s_cselect_b32 s20, s28, s30
	s_xor_b64 s[12:13], s[22:23], s[12:13]
	s_xor_b64 s[20:21], s[20:21], s[12:13]
	s_sub_u32 s20, s20, s12
	s_subb_u32 s21, s21, s13
	s_cbranch_execnz .LBB1_6
.LBB1_5:
	v_cvt_f32_u32_e32 v1, s4
	s_sub_i32 s12, 0, s4
	s_mov_b32 s21, 0
	v_rcp_iflag_f32_e32 v1, v1
	s_nop 0
	v_mul_f32_e32 v1, 0x4f7ffffe, v1
	v_cvt_u32_f32_e32 v1, v1
	s_nop 0
	v_readfirstlane_b32 s13, v1
	s_mul_i32 s12, s12, s13
	s_mul_hi_u32 s12, s13, s12
	s_add_i32 s13, s13, s12
	s_mul_hi_u32 s12, s8, s13
	s_mul_i32 s14, s12, s4
	s_sub_i32 s14, s8, s14
	s_add_i32 s13, s12, 1
	s_sub_i32 s15, s14, s4
	s_cmp_ge_u32 s14, s4
	s_cselect_b32 s12, s13, s12
	s_cselect_b32 s14, s15, s14
	s_add_i32 s13, s12, 1
	s_cmp_ge_u32 s14, s4
	s_cselect_b32 s20, s13, s12
.LBB1_6:
	s_load_dwordx4 s[12:15], s[0:1], 0x0
	s_load_dwordx2 s[24:25], s[0:1], 0x10
	s_load_dword s26, s[0:1], 0x54
	v_mov_b32_e32 v1, 0
	v_cmp_gt_i64_e32 vcc, s[6:7], v[0:1]
	v_mov_b64_e32 v[6:7], 0
	s_and_saveexec_b64 s[0:1], vcc
	s_cbranch_execz .LBB1_14
; %bb.7:
	s_mul_i32 s11, s18, s11
	s_mul_hi_u32 s22, s18, s10
	s_add_i32 s11, s22, s11
	s_mul_i32 s22, s19, s10
	s_add_i32 s11, s11, s22
	s_mul_i32 s10, s18, s10
	s_lshl_b64 s[10:11], s[10:11], 3
	s_waitcnt lgkmcnt(0)
	s_add_u32 s14, s14, s10
	s_addc_u32 s15, s15, s11
	s_mul_i32 s10, s20, s7
	s_mul_hi_u32 s11, s20, s6
	s_add_i32 s10, s11, s10
	s_mul_i32 s11, s21, s6
	s_add_i32 s11, s10, s11
	s_mul_i32 s10, s20, s6
	s_lshl_b64 s[10:11], s[10:11], 3
	s_add_u32 s10, s14, s10
	s_addc_u32 s11, s15, s11
	s_lshl_b64 s[14:15], s[6:7], 3
	s_add_u32 s14, s10, s14
	s_mul_i32 s17, s18, s17
	s_mul_hi_u32 s22, s18, s16
	s_addc_u32 s15, s11, s15
	s_add_i32 s17, s22, s17
	s_mul_i32 s19, s19, s16
	s_add_i32 s17, s17, s19
	s_mul_i32 s16, s18, s16
	s_lshl_b64 s[16:17], s[16:17], 3
	s_add_u32 s16, s24, s16
	s_mul_i32 s5, s20, s5
	s_mul_hi_u32 s18, s20, s4
	s_addc_u32 s17, s25, s17
	s_add_i32 s5, s18, s5
	s_mul_i32 s18, s21, s4
	s_add_i32 s5, s5, s18
	s_mul_i32 s4, s20, s4
	s_sub_u32 s4, s8, s4
	s_subb_u32 s5, s9, s5
	s_mul_i32 s7, s4, s7
	s_mul_hi_u32 s8, s4, s6
	s_add_i32 s7, s8, s7
	s_mul_i32 s5, s5, s6
	s_add_i32 s5, s7, s5
	s_mul_i32 s4, s4, s6
	s_lshl_b64 s[4:5], s[4:5], 3
	s_add_u32 s4, s16, s4
	v_lshlrev_b32_e32 v2, 3, v0
	s_mov_b32 s23, 0
	v_mov_b32_e32 v3, v1
	s_addc_u32 s5, s17, s5
	s_and_b32 s8, s26, 0xffff
	v_lshl_add_u64 v[4:5], s[10:11], 0, v[2:3]
	s_lshl_b32 s22, s8, 3
	v_mov_b64_e32 v[8:9], 0
	s_mov_b64 s[6:7], 0
	s_lshl_b32 s8, s8, 3
	s_mov_b32 s9, s23
	s_branch .LBB1_10
.LBB1_8:                                ;   in Loop: Header=BB1_10 Depth=1
	s_or_b64 exec, exec, s[18:19]
	v_mov_b64_e32 v[6:7], v[8:9]
.LBB1_9:                                ;   in Loop: Header=BB1_10 Depth=1
	s_or_b64 exec, exec, s[16:17]
	v_lshl_add_u64 v[4:5], v[4:5], 0, s[8:9]
	v_cmp_le_u64_e32 vcc, s[14:15], v[4:5]
	v_lshl_add_u64 v[2:3], v[2:3], 0, s[22:23]
	s_or_b64 s[6:7], vcc, s[6:7]
	v_mov_b64_e32 v[8:9], v[6:7]
	s_andn2_b64 exec, exec, s[6:7]
	s_cbranch_execz .LBB1_13
.LBB1_10:                               ; =>This Inner Loop Header: Depth=1
	v_lshl_add_u64 v[10:11], s[10:11], 0, v[2:3]
	v_lshl_add_u64 v[6:7], s[4:5], 0, v[2:3]
	global_load_dwordx2 v[12:13], v[10:11], off
	global_load_dwordx2 v[14:15], v[6:7], off
	s_waitcnt vmcnt(0)
	v_add_f64 v[10:11], v[12:13], -v[14:15]
	v_and_b32_e32 v7, 0x7fffffff, v11
	v_mov_b32_e32 v6, v10
	v_cmp_o_f64_e32 vcc, v[10:11], v[10:11]
	s_and_saveexec_b64 s[16:17], vcc
	s_cbranch_execz .LBB1_9
; %bb.11:                               ;   in Loop: Header=BB1_10 Depth=1
	v_cmp_neq_f64_e32 vcc, 0, v[10:11]
	s_and_saveexec_b64 s[18:19], vcc
	s_cbranch_execz .LBB1_8
; %bb.12:                               ;   in Loop: Header=BB1_10 Depth=1
	v_add_f64 v[8:9], v[8:9], 1.0
	s_branch .LBB1_8
.LBB1_13:
	s_or_b64 exec, exec, s[6:7]
.LBB1_14:
	s_or_b64 exec, exec, s[0:1]
	v_mbcnt_lo_u32_b32 v1, -1, 0
	v_mbcnt_hi_u32_b32 v10, -1, v1
	v_mov_b32_e32 v1, 0x80
	v_lshl_or_b32 v1, v10, 2, v1
	ds_bpermute_b32 v2, v1, v6
	ds_bpermute_b32 v3, v1, v7
	v_and_b32_e32 v12, 63, v10
	v_cmp_gt_u32_e32 vcc, 48, v12
	v_and_b32_e32 v11, 63, v0
	s_waitcnt lgkmcnt(0)
	v_cndmask_b32_e64 v4, 0, 16, vcc
	v_add_f64 v[2:3], v[6:7], v[2:3]
	v_add_lshl_u32 v6, v4, v10, 2
	ds_bpermute_b32 v4, v6, v2
	ds_bpermute_b32 v5, v6, v3
	v_cmp_gt_u32_e32 vcc, 56, v12
	s_barrier
	s_waitcnt lgkmcnt(0)
	v_add_f64 v[2:3], v[2:3], v[4:5]
	v_cndmask_b32_e64 v4, 0, 8, vcc
	v_add_lshl_u32 v7, v4, v10, 2
	ds_bpermute_b32 v4, v7, v2
	ds_bpermute_b32 v5, v7, v3
	v_cmp_gt_u32_e32 vcc, 60, v12
	s_waitcnt lgkmcnt(0)
	v_add_f64 v[2:3], v[2:3], v[4:5]
	v_cndmask_b32_e64 v4, 0, 4, vcc
	v_add_lshl_u32 v8, v4, v10, 2
	ds_bpermute_b32 v4, v8, v2
	ds_bpermute_b32 v5, v8, v3
	v_cmp_gt_u32_e32 vcc, 62, v12
	s_waitcnt lgkmcnt(0)
	v_add_f64 v[2:3], v[2:3], v[4:5]
	v_cndmask_b32_e64 v4, 0, 2, vcc
	v_add_lshl_u32 v9, v4, v10, 2
	ds_bpermute_b32 v4, v9, v2
	ds_bpermute_b32 v5, v9, v3
	v_cmp_ne_u32_e32 vcc, 63, v12
	s_waitcnt lgkmcnt(0)
	v_add_f64 v[2:3], v[2:3], v[4:5]
	v_addc_co_u32_e32 v4, vcc, 0, v10, vcc
	v_lshlrev_b32_e32 v10, 2, v4
	ds_bpermute_b32 v4, v10, v2
	ds_bpermute_b32 v5, v10, v3
	v_cmp_eq_u32_e32 vcc, 0, v11
	s_and_saveexec_b64 s[0:1], vcc
	s_cbranch_execz .LBB1_16
; %bb.15:
	v_lshrrev_b32_e32 v12, 3, v0
	s_waitcnt lgkmcnt(0)
	v_add_f64 v[2:3], v[2:3], v[4:5]
	ds_write_b64 v12, v[2:3]
.LBB1_16:
	s_or_b64 exec, exec, s[0:1]
	s_and_b32 s0, 0xffff, s26
	s_lshr_b32 s0, s0, 6
	v_cmp_gt_u32_e32 vcc, s0, v0
	v_mov_b64_e32 v[2:3], 0
	s_waitcnt lgkmcnt(0)
	s_barrier
	s_and_saveexec_b64 s[0:1], vcc
	s_cbranch_execnz .LBB1_20
; %bb.17:
	s_or_b64 exec, exec, s[0:1]
	v_cmp_gt_u32_e32 vcc, 64, v0
	s_and_saveexec_b64 s[0:1], vcc
	s_cbranch_execnz .LBB1_21
.LBB1_18:
	s_or_b64 exec, exec, s[0:1]
	v_cmp_eq_u32_e32 vcc, 0, v0
	s_and_saveexec_b64 s[0:1], vcc
	s_cbranch_execnz .LBB1_22
.LBB1_19:
	s_endpgm
.LBB1_20:
	v_lshlrev_b32_e32 v2, 3, v11
	ds_read_b64 v[2:3], v2
	s_or_b64 exec, exec, s[0:1]
	v_cmp_gt_u32_e32 vcc, 64, v0
	s_and_saveexec_b64 s[0:1], vcc
	s_cbranch_execz .LBB1_18
.LBB1_21:
	s_waitcnt lgkmcnt(0)
	ds_bpermute_b32 v4, v1, v2
	ds_bpermute_b32 v5, v1, v3
	s_waitcnt lgkmcnt(0)
	v_add_f64 v[2:3], v[2:3], v[4:5]
	ds_bpermute_b32 v4, v6, v2
	ds_bpermute_b32 v5, v6, v3
	s_waitcnt lgkmcnt(0)
	v_add_f64 v[2:3], v[2:3], v[4:5]
	;; [unrolled: 4-line block ×6, first 2 shown]
	s_or_b64 exec, exec, s[0:1]
	v_cmp_eq_u32_e32 vcc, 0, v0
	s_and_saveexec_b64 s[0:1], vcc
	s_cbranch_execz .LBB1_19
.LBB1_22:
	s_lshl_b64 s[0:1], s[2:3], 3
	s_add_u32 s0, s12, s0
	s_addc_u32 s1, s13, s1
	v_mov_b32_e32 v0, 0
	s_waitcnt lgkmcnt(0)
	global_store_dwordx2 v0, v[2:3], s[0:1]
	s_endpgm
.LBB1_23:
                                        ; implicit-def: $sgpr18_sgpr19
	s_branch .LBB1_2
.LBB1_24:
                                        ; implicit-def: $sgpr20_sgpr21
	s_branch .LBB1_5
	.section	.rodata,"a",@progbits
	.p2align	6, 0x0
	.amdhsa_kernel _ZN2at6native12_GLOBAL__N_122cdist_kernel_cuda_implIdNS1_5distsIdE4zeroEEEvPT_PKS6_S9_S6_lllll
		.amdhsa_group_segment_fixed_size 2048
		.amdhsa_private_segment_fixed_size 0
		.amdhsa_kernarg_size 328
		.amdhsa_user_sgpr_count 2
		.amdhsa_user_sgpr_dispatch_ptr 0
		.amdhsa_user_sgpr_queue_ptr 0
		.amdhsa_user_sgpr_kernarg_segment_ptr 1
		.amdhsa_user_sgpr_dispatch_id 0
		.amdhsa_user_sgpr_kernarg_preload_length 0
		.amdhsa_user_sgpr_kernarg_preload_offset 0
		.amdhsa_user_sgpr_private_segment_size 0
		.amdhsa_uses_dynamic_stack 0
		.amdhsa_enable_private_segment 0
		.amdhsa_system_sgpr_workgroup_id_x 1
		.amdhsa_system_sgpr_workgroup_id_y 0
		.amdhsa_system_sgpr_workgroup_id_z 0
		.amdhsa_system_sgpr_workgroup_info 0
		.amdhsa_system_vgpr_workitem_id 0
		.amdhsa_next_free_vgpr 16
		.amdhsa_next_free_sgpr 37
		.amdhsa_accum_offset 16
		.amdhsa_reserve_vcc 1
		.amdhsa_float_round_mode_32 0
		.amdhsa_float_round_mode_16_64 0
		.amdhsa_float_denorm_mode_32 3
		.amdhsa_float_denorm_mode_16_64 3
		.amdhsa_dx10_clamp 1
		.amdhsa_ieee_mode 1
		.amdhsa_fp16_overflow 0
		.amdhsa_tg_split 0
		.amdhsa_exception_fp_ieee_invalid_op 0
		.amdhsa_exception_fp_denorm_src 0
		.amdhsa_exception_fp_ieee_div_zero 0
		.amdhsa_exception_fp_ieee_overflow 0
		.amdhsa_exception_fp_ieee_underflow 0
		.amdhsa_exception_fp_ieee_inexact 0
		.amdhsa_exception_int_div_zero 0
	.end_amdhsa_kernel
	.section	.text._ZN2at6native12_GLOBAL__N_122cdist_kernel_cuda_implIdNS1_5distsIdE4zeroEEEvPT_PKS6_S9_S6_lllll,"axG",@progbits,_ZN2at6native12_GLOBAL__N_122cdist_kernel_cuda_implIdNS1_5distsIdE4zeroEEEvPT_PKS6_S9_S6_lllll,comdat
.Lfunc_end1:
	.size	_ZN2at6native12_GLOBAL__N_122cdist_kernel_cuda_implIdNS1_5distsIdE4zeroEEEvPT_PKS6_S9_S6_lllll, .Lfunc_end1-_ZN2at6native12_GLOBAL__N_122cdist_kernel_cuda_implIdNS1_5distsIdE4zeroEEEvPT_PKS6_S9_S6_lllll
                                        ; -- End function
	.set _ZN2at6native12_GLOBAL__N_122cdist_kernel_cuda_implIdNS1_5distsIdE4zeroEEEvPT_PKS6_S9_S6_lllll.num_vgpr, 16
	.set _ZN2at6native12_GLOBAL__N_122cdist_kernel_cuda_implIdNS1_5distsIdE4zeroEEEvPT_PKS6_S9_S6_lllll.num_agpr, 0
	.set _ZN2at6native12_GLOBAL__N_122cdist_kernel_cuda_implIdNS1_5distsIdE4zeroEEEvPT_PKS6_S9_S6_lllll.numbered_sgpr, 37
	.set _ZN2at6native12_GLOBAL__N_122cdist_kernel_cuda_implIdNS1_5distsIdE4zeroEEEvPT_PKS6_S9_S6_lllll.num_named_barrier, 0
	.set _ZN2at6native12_GLOBAL__N_122cdist_kernel_cuda_implIdNS1_5distsIdE4zeroEEEvPT_PKS6_S9_S6_lllll.private_seg_size, 0
	.set _ZN2at6native12_GLOBAL__N_122cdist_kernel_cuda_implIdNS1_5distsIdE4zeroEEEvPT_PKS6_S9_S6_lllll.uses_vcc, 1
	.set _ZN2at6native12_GLOBAL__N_122cdist_kernel_cuda_implIdNS1_5distsIdE4zeroEEEvPT_PKS6_S9_S6_lllll.uses_flat_scratch, 0
	.set _ZN2at6native12_GLOBAL__N_122cdist_kernel_cuda_implIdNS1_5distsIdE4zeroEEEvPT_PKS6_S9_S6_lllll.has_dyn_sized_stack, 0
	.set _ZN2at6native12_GLOBAL__N_122cdist_kernel_cuda_implIdNS1_5distsIdE4zeroEEEvPT_PKS6_S9_S6_lllll.has_recursion, 0
	.set _ZN2at6native12_GLOBAL__N_122cdist_kernel_cuda_implIdNS1_5distsIdE4zeroEEEvPT_PKS6_S9_S6_lllll.has_indirect_call, 0
	.section	.AMDGPU.csdata,"",@progbits
; Kernel info:
; codeLenInByte = 2448
; TotalNumSgprs: 43
; NumVgprs: 16
; NumAgprs: 0
; TotalNumVgprs: 16
; ScratchSize: 0
; MemoryBound: 0
; FloatMode: 240
; IeeeMode: 1
; LDSByteSize: 2048 bytes/workgroup (compile time only)
; SGPRBlocks: 5
; VGPRBlocks: 1
; NumSGPRsForWavesPerEU: 43
; NumVGPRsForWavesPerEU: 16
; AccumOffset: 16
; Occupancy: 8
; WaveLimiterHint : 0
; COMPUTE_PGM_RSRC2:SCRATCH_EN: 0
; COMPUTE_PGM_RSRC2:USER_SGPR: 2
; COMPUTE_PGM_RSRC2:TRAP_HANDLER: 0
; COMPUTE_PGM_RSRC2:TGID_X_EN: 1
; COMPUTE_PGM_RSRC2:TGID_Y_EN: 0
; COMPUTE_PGM_RSRC2:TGID_Z_EN: 0
; COMPUTE_PGM_RSRC2:TIDIG_COMP_CNT: 0
; COMPUTE_PGM_RSRC3_GFX90A:ACCUM_OFFSET: 3
; COMPUTE_PGM_RSRC3_GFX90A:TG_SPLIT: 0
	.section	.text._ZN2at6native12_GLOBAL__N_122cdist_kernel_cuda_implIdNS1_5distsIdE3oneEEEvPT_PKS6_S9_S6_lllll,"axG",@progbits,_ZN2at6native12_GLOBAL__N_122cdist_kernel_cuda_implIdNS1_5distsIdE3oneEEEvPT_PKS6_S9_S6_lllll,comdat
	.globl	_ZN2at6native12_GLOBAL__N_122cdist_kernel_cuda_implIdNS1_5distsIdE3oneEEEvPT_PKS6_S9_S6_lllll ; -- Begin function _ZN2at6native12_GLOBAL__N_122cdist_kernel_cuda_implIdNS1_5distsIdE3oneEEEvPT_PKS6_S9_S6_lllll
	.p2align	8
	.type	_ZN2at6native12_GLOBAL__N_122cdist_kernel_cuda_implIdNS1_5distsIdE3oneEEEvPT_PKS6_S9_S6_lllll,@function
_ZN2at6native12_GLOBAL__N_122cdist_kernel_cuda_implIdNS1_5distsIdE3oneEEEvPT_PKS6_S9_S6_lllll: ; @_ZN2at6native12_GLOBAL__N_122cdist_kernel_cuda_implIdNS1_5distsIdE3oneEEEvPT_PKS6_S9_S6_lllll
; %bb.0:
	s_load_dwordx8 s[4:11], s[0:1], 0x20
	s_load_dwordx2 s[16:17], s[0:1], 0x40
	s_mov_b32 s3, 0
	s_mov_b32 s12, s3
	s_waitcnt lgkmcnt(0)
	s_mov_b32 s13, s9
	s_cmp_lg_u64 s[12:13], 0
	s_cbranch_scc0 .LBB2_19
; %bb.1:
	s_ashr_i32 s12, s9, 31
	s_add_u32 s14, s8, s12
	s_mov_b32 s13, s12
	s_addc_u32 s15, s9, s12
	s_xor_b64 s[18:19], s[14:15], s[12:13]
	v_cvt_f32_u32_e32 v1, s18
	v_cvt_f32_u32_e32 v2, s19
	s_sub_u32 s22, 0, s18
	s_subb_u32 s23, 0, s19
	v_fmamk_f32 v1, v2, 0x4f800000, v1
	v_rcp_f32_e32 v1, v1
	s_nop 0
	v_mul_f32_e32 v1, 0x5f7ffffc, v1
	v_mul_f32_e32 v2, 0x2f800000, v1
	v_trunc_f32_e32 v2, v2
	v_fmamk_f32 v1, v2, 0xcf800000, v1
	v_cvt_u32_f32_e32 v2, v2
	v_cvt_u32_f32_e32 v1, v1
	v_readfirstlane_b32 s24, v2
	v_readfirstlane_b32 s20, v1
	s_mul_i32 s21, s22, s24
	s_mul_hi_u32 s26, s22, s20
	s_mul_i32 s25, s23, s20
	s_add_i32 s21, s26, s21
	s_add_i32 s21, s21, s25
	s_mul_i32 s27, s22, s20
	s_mul_i32 s26, s20, s21
	s_mul_hi_u32 s28, s20, s27
	s_mul_hi_u32 s25, s20, s21
	s_add_u32 s26, s28, s26
	s_addc_u32 s25, 0, s25
	s_mul_hi_u32 s29, s24, s27
	s_mul_i32 s27, s24, s27
	s_add_u32 s26, s26, s27
	s_mul_hi_u32 s28, s24, s21
	s_addc_u32 s25, s25, s29
	s_addc_u32 s26, s28, 0
	s_mul_i32 s21, s24, s21
	s_add_u32 s21, s25, s21
	s_addc_u32 s25, 0, s26
	s_add_u32 s26, s20, s21
	s_cselect_b64 s[20:21], -1, 0
	s_cmp_lg_u64 s[20:21], 0
	s_addc_u32 s24, s24, s25
	s_mul_i32 s20, s22, s24
	s_mul_hi_u32 s21, s22, s26
	s_add_i32 s20, s21, s20
	s_mul_i32 s23, s23, s26
	s_add_i32 s20, s20, s23
	s_mul_i32 s22, s22, s26
	s_mul_hi_u32 s23, s24, s22
	s_mul_i32 s25, s24, s22
	s_mul_i32 s28, s26, s20
	s_mul_hi_u32 s22, s26, s22
	s_mul_hi_u32 s27, s26, s20
	s_add_u32 s22, s22, s28
	s_addc_u32 s27, 0, s27
	s_add_u32 s22, s22, s25
	s_mul_hi_u32 s21, s24, s20
	s_addc_u32 s22, s27, s23
	s_addc_u32 s21, s21, 0
	s_mul_i32 s20, s24, s20
	s_add_u32 s20, s22, s20
	s_addc_u32 s22, 0, s21
	s_add_u32 s23, s26, s20
	s_cselect_b64 s[20:21], -1, 0
	s_cmp_lg_u64 s[20:21], 0
	s_addc_u32 s22, s24, s22
	s_add_u32 s20, s2, 0
	s_addc_u32 s21, 0, 0
	s_xor_b64 s[20:21], s[20:21], 0
	s_mul_i32 s25, s20, s22
	s_mul_hi_u32 s26, s20, s23
	s_mul_hi_u32 s24, s20, s22
	s_add_u32 s25, s26, s25
	s_addc_u32 s24, 0, s24
	s_mul_hi_u32 s27, s21, s23
	s_mul_i32 s23, s21, s23
	s_add_u32 s23, s25, s23
	s_mul_hi_u32 s26, s21, s22
	s_addc_u32 s23, s24, s27
	s_addc_u32 s24, s26, 0
	s_mul_i32 s22, s21, s22
	s_add_u32 s26, s23, s22
	s_addc_u32 s27, 0, s24
	s_mul_i32 s22, s18, s27
	s_mul_hi_u32 s23, s18, s26
	s_add_i32 s22, s23, s22
	s_mul_i32 s23, s19, s26
	s_add_i32 s28, s22, s23
	s_sub_i32 s24, s21, s28
	s_mul_i32 s22, s18, s26
	s_sub_u32 s20, s20, s22
	s_cselect_b64 s[22:23], -1, 0
	s_cmp_lg_u64 s[22:23], 0
	s_subb_u32 s29, s24, s19
	s_sub_u32 s30, s20, s18
	s_cselect_b64 s[24:25], -1, 0
	s_cmp_lg_u64 s[24:25], 0
	s_subb_u32 s24, s29, 0
	s_cmp_ge_u32 s24, s19
	s_cselect_b32 s25, -1, 0
	s_cmp_ge_u32 s30, s18
	s_cselect_b32 s29, -1, 0
	s_cmp_eq_u32 s24, s19
	s_cselect_b32 s24, s29, s25
	s_add_u32 s25, s26, 1
	s_addc_u32 s29, s27, 0
	s_add_u32 s30, s26, 2
	s_addc_u32 s31, s27, 0
	s_cmp_lg_u32 s24, 0
	s_cselect_b32 s24, s30, s25
	s_cselect_b32 s25, s31, s29
	s_cmp_lg_u64 s[22:23], 0
	s_subb_u32 s21, s21, s28
	s_cmp_ge_u32 s21, s19
	s_cselect_b32 s22, -1, 0
	s_cmp_ge_u32 s20, s18
	s_cselect_b32 s18, -1, 0
	s_cmp_eq_u32 s21, s19
	s_cselect_b32 s18, s18, s22
	s_cmp_lg_u32 s18, 0
	s_cselect_b32 s19, s25, s27
	s_cselect_b32 s18, s24, s26
	s_xor_b64 s[12:13], 0, s[12:13]
	s_xor_b64 s[18:19], s[18:19], s[12:13]
	s_sub_u32 s18, s18, s12
	s_subb_u32 s19, s19, s13
	s_cbranch_execnz .LBB2_3
.LBB2_2:
	v_cvt_f32_u32_e32 v1, s8
	s_sub_i32 s12, 0, s8
	s_mov_b32 s19, 0
	v_rcp_iflag_f32_e32 v1, v1
	s_nop 0
	v_mul_f32_e32 v1, 0x4f7ffffe, v1
	v_cvt_u32_f32_e32 v1, v1
	s_nop 0
	v_readfirstlane_b32 s13, v1
	s_mul_i32 s12, s12, s13
	s_mul_hi_u32 s12, s13, s12
	s_add_i32 s13, s13, s12
	s_mul_hi_u32 s12, s2, s13
	s_mul_i32 s14, s12, s8
	s_sub_i32 s14, s2, s14
	s_add_i32 s13, s12, 1
	s_sub_i32 s15, s14, s8
	s_cmp_ge_u32 s14, s8
	s_cselect_b32 s12, s13, s12
	s_cselect_b32 s14, s15, s14
	s_add_i32 s13, s12, 1
	s_cmp_ge_u32 s14, s8
	s_cselect_b32 s18, s13, s12
.LBB2_3:
	s_mul_i32 s9, s18, s9
	s_mul_hi_u32 s12, s18, s8
	s_add_i32 s9, s12, s9
	s_mul_i32 s12, s19, s8
	s_add_i32 s9, s9, s12
	s_mul_i32 s8, s18, s8
	s_sub_u32 s8, s2, s8
	s_subb_u32 s9, 0, s9
	s_or_b64 s[12:13], s[8:9], s[4:5]
	s_mov_b32 s12, 0
	s_cmp_lg_u64 s[12:13], 0
	s_cbranch_scc0 .LBB2_20
; %bb.4:
	s_ashr_i32 s12, s5, 31
	s_add_u32 s14, s4, s12
	s_mov_b32 s13, s12
	s_addc_u32 s15, s5, s12
	s_xor_b64 s[20:21], s[14:15], s[12:13]
	v_cvt_f32_u32_e32 v1, s20
	v_cvt_f32_u32_e32 v2, s21
	s_sub_u32 s24, 0, s20
	s_subb_u32 s25, 0, s21
	v_fmamk_f32 v1, v2, 0x4f800000, v1
	v_rcp_f32_e32 v1, v1
	s_nop 0
	v_mul_f32_e32 v1, 0x5f7ffffc, v1
	v_mul_f32_e32 v2, 0x2f800000, v1
	v_trunc_f32_e32 v2, v2
	v_fmamk_f32 v1, v2, 0xcf800000, v1
	v_cvt_u32_f32_e32 v2, v2
	v_cvt_u32_f32_e32 v1, v1
	v_readfirstlane_b32 s26, v2
	v_readfirstlane_b32 s22, v1
	s_mul_i32 s23, s24, s26
	s_mul_hi_u32 s28, s24, s22
	s_mul_i32 s27, s25, s22
	s_add_i32 s23, s28, s23
	s_add_i32 s23, s23, s27
	s_mul_i32 s29, s24, s22
	s_mul_i32 s28, s22, s23
	s_mul_hi_u32 s30, s22, s29
	s_mul_hi_u32 s27, s22, s23
	s_add_u32 s28, s30, s28
	s_addc_u32 s27, 0, s27
	s_mul_hi_u32 s31, s26, s29
	s_mul_i32 s29, s26, s29
	s_add_u32 s28, s28, s29
	s_mul_hi_u32 s30, s26, s23
	s_addc_u32 s27, s27, s31
	s_addc_u32 s28, s30, 0
	s_mul_i32 s23, s26, s23
	s_add_u32 s23, s27, s23
	s_addc_u32 s27, 0, s28
	s_add_u32 s28, s22, s23
	s_cselect_b64 s[22:23], -1, 0
	s_cmp_lg_u64 s[22:23], 0
	s_addc_u32 s26, s26, s27
	s_mul_i32 s22, s24, s26
	s_mul_hi_u32 s23, s24, s28
	s_add_i32 s22, s23, s22
	s_mul_i32 s25, s25, s28
	s_add_i32 s22, s22, s25
	s_mul_i32 s24, s24, s28
	s_mul_hi_u32 s25, s26, s24
	s_mul_i32 s27, s26, s24
	s_mul_i32 s30, s28, s22
	s_mul_hi_u32 s24, s28, s24
	s_mul_hi_u32 s29, s28, s22
	s_add_u32 s24, s24, s30
	s_addc_u32 s29, 0, s29
	s_add_u32 s24, s24, s27
	s_mul_hi_u32 s23, s26, s22
	s_addc_u32 s24, s29, s25
	s_addc_u32 s23, s23, 0
	s_mul_i32 s22, s26, s22
	s_add_u32 s22, s24, s22
	s_addc_u32 s24, 0, s23
	s_add_u32 s27, s28, s22
	s_cselect_b64 s[22:23], -1, 0
	s_cmp_lg_u64 s[22:23], 0
	s_addc_u32 s26, s26, s24
	s_ashr_i32 s22, s9, 31
	s_add_u32 s24, s8, s22
	s_mov_b32 s23, s22
	s_addc_u32 s25, s9, s22
	s_xor_b64 s[24:25], s[24:25], s[22:23]
	s_mul_i32 s29, s24, s26
	s_mul_hi_u32 s30, s24, s27
	s_mul_hi_u32 s28, s24, s26
	s_add_u32 s29, s30, s29
	s_addc_u32 s28, 0, s28
	s_mul_hi_u32 s31, s25, s27
	s_mul_i32 s27, s25, s27
	s_add_u32 s27, s29, s27
	s_mul_hi_u32 s30, s25, s26
	s_addc_u32 s27, s28, s31
	s_addc_u32 s28, s30, 0
	s_mul_i32 s26, s25, s26
	s_add_u32 s30, s27, s26
	s_addc_u32 s31, 0, s28
	s_mul_i32 s26, s20, s31
	s_mul_hi_u32 s27, s20, s30
	s_add_i32 s26, s27, s26
	s_mul_i32 s27, s21, s30
	s_add_i32 s33, s26, s27
	s_sub_i32 s28, s25, s33
	s_mul_i32 s26, s20, s30
	s_sub_u32 s24, s24, s26
	s_cselect_b64 s[26:27], -1, 0
	s_cmp_lg_u64 s[26:27], 0
	s_subb_u32 s34, s28, s21
	s_sub_u32 s35, s24, s20
	s_cselect_b64 s[28:29], -1, 0
	s_cmp_lg_u64 s[28:29], 0
	s_subb_u32 s28, s34, 0
	s_cmp_ge_u32 s28, s21
	s_cselect_b32 s29, -1, 0
	s_cmp_ge_u32 s35, s20
	s_cselect_b32 s34, -1, 0
	s_cmp_eq_u32 s28, s21
	s_cselect_b32 s28, s34, s29
	s_add_u32 s29, s30, 1
	s_addc_u32 s34, s31, 0
	s_add_u32 s35, s30, 2
	s_addc_u32 s36, s31, 0
	s_cmp_lg_u32 s28, 0
	s_cselect_b32 s28, s35, s29
	s_cselect_b32 s29, s36, s34
	s_cmp_lg_u64 s[26:27], 0
	s_subb_u32 s25, s25, s33
	s_cmp_ge_u32 s25, s21
	s_cselect_b32 s26, -1, 0
	s_cmp_ge_u32 s24, s20
	s_cselect_b32 s20, -1, 0
	s_cmp_eq_u32 s25, s21
	s_cselect_b32 s20, s20, s26
	s_cmp_lg_u32 s20, 0
	s_cselect_b32 s21, s29, s31
	s_cselect_b32 s20, s28, s30
	s_xor_b64 s[12:13], s[22:23], s[12:13]
	s_xor_b64 s[20:21], s[20:21], s[12:13]
	s_sub_u32 s20, s20, s12
	s_subb_u32 s21, s21, s13
	s_cbranch_execnz .LBB2_6
.LBB2_5:
	v_cvt_f32_u32_e32 v1, s4
	s_sub_i32 s12, 0, s4
	s_mov_b32 s21, 0
	v_rcp_iflag_f32_e32 v1, v1
	s_nop 0
	v_mul_f32_e32 v1, 0x4f7ffffe, v1
	v_cvt_u32_f32_e32 v1, v1
	s_nop 0
	v_readfirstlane_b32 s13, v1
	s_mul_i32 s12, s12, s13
	s_mul_hi_u32 s12, s13, s12
	s_add_i32 s13, s13, s12
	s_mul_hi_u32 s12, s8, s13
	s_mul_i32 s14, s12, s4
	s_sub_i32 s14, s8, s14
	s_add_i32 s13, s12, 1
	s_sub_i32 s15, s14, s4
	s_cmp_ge_u32 s14, s4
	s_cselect_b32 s12, s13, s12
	s_cselect_b32 s14, s15, s14
	s_add_i32 s13, s12, 1
	s_cmp_ge_u32 s14, s4
	s_cselect_b32 s20, s13, s12
.LBB2_6:
	s_load_dwordx4 s[12:15], s[0:1], 0x0
	s_load_dwordx2 s[24:25], s[0:1], 0x10
	s_load_dword s26, s[0:1], 0x54
	v_mov_b32_e32 v1, 0
	v_cmp_gt_i64_e32 vcc, s[6:7], v[0:1]
	v_mov_b64_e32 v[6:7], 0
	s_and_saveexec_b64 s[0:1], vcc
	s_cbranch_execz .LBB2_10
; %bb.7:
	s_mul_i32 s11, s18, s11
	s_mul_hi_u32 s22, s18, s10
	s_add_i32 s11, s22, s11
	s_mul_i32 s22, s19, s10
	s_add_i32 s11, s11, s22
	s_mul_i32 s10, s18, s10
	s_lshl_b64 s[10:11], s[10:11], 3
	s_waitcnt lgkmcnt(0)
	s_add_u32 s14, s14, s10
	s_addc_u32 s15, s15, s11
	s_mul_i32 s10, s20, s7
	s_mul_hi_u32 s11, s20, s6
	s_add_i32 s10, s11, s10
	s_mul_i32 s11, s21, s6
	s_add_i32 s11, s10, s11
	s_mul_i32 s10, s20, s6
	s_lshl_b64 s[10:11], s[10:11], 3
	s_add_u32 s10, s14, s10
	s_addc_u32 s11, s15, s11
	s_lshl_b64 s[14:15], s[6:7], 3
	s_add_u32 s14, s10, s14
	s_mul_i32 s17, s18, s17
	s_mul_hi_u32 s22, s18, s16
	s_addc_u32 s15, s11, s15
	s_add_i32 s17, s22, s17
	s_mul_i32 s19, s19, s16
	s_add_i32 s17, s17, s19
	s_mul_i32 s16, s18, s16
	s_lshl_b64 s[16:17], s[16:17], 3
	s_add_u32 s16, s24, s16
	s_mul_i32 s5, s20, s5
	s_mul_hi_u32 s18, s20, s4
	s_addc_u32 s17, s25, s17
	s_add_i32 s5, s18, s5
	s_mul_i32 s18, s21, s4
	s_add_i32 s5, s5, s18
	s_mul_i32 s4, s20, s4
	s_sub_u32 s4, s8, s4
	s_subb_u32 s5, s9, s5
	s_mul_i32 s7, s4, s7
	s_mul_hi_u32 s8, s4, s6
	s_add_i32 s7, s8, s7
	s_mul_i32 s5, s5, s6
	s_add_i32 s5, s7, s5
	s_mul_i32 s4, s4, s6
	s_lshl_b64 s[4:5], s[4:5], 3
	s_add_u32 s4, s16, s4
	v_lshlrev_b32_e32 v2, 3, v0
	s_mov_b32 s23, 0
	v_mov_b32_e32 v3, v1
	s_addc_u32 s5, s17, s5
	s_and_b32 s8, s26, 0xffff
	v_lshl_add_u64 v[4:5], s[10:11], 0, v[2:3]
	s_lshl_b32 s22, s8, 3
	v_mov_b64_e32 v[6:7], 0
	s_mov_b64 s[6:7], 0
	s_lshl_b32 s8, s8, 3
	s_mov_b32 s9, s23
.LBB2_8:                                ; =>This Inner Loop Header: Depth=1
	v_lshl_add_u64 v[10:11], s[10:11], 0, v[2:3]
	v_lshl_add_u64 v[8:9], s[4:5], 0, v[2:3]
	global_load_dwordx2 v[12:13], v[10:11], off
	global_load_dwordx2 v[14:15], v[8:9], off
	v_lshl_add_u64 v[4:5], v[4:5], 0, s[8:9]
	v_cmp_le_u64_e32 vcc, s[14:15], v[4:5]
	v_lshl_add_u64 v[2:3], v[2:3], 0, s[22:23]
	s_or_b64 s[6:7], vcc, s[6:7]
	s_waitcnt vmcnt(0)
	v_add_f64 v[8:9], v[12:13], -v[14:15]
	v_add_f64 v[6:7], v[6:7], |v[8:9]|
	s_andn2_b64 exec, exec, s[6:7]
	s_cbranch_execnz .LBB2_8
; %bb.9:
	s_or_b64 exec, exec, s[6:7]
.LBB2_10:
	s_or_b64 exec, exec, s[0:1]
	v_mbcnt_lo_u32_b32 v1, -1, 0
	v_mbcnt_hi_u32_b32 v10, -1, v1
	v_mov_b32_e32 v1, 0x80
	v_lshl_or_b32 v1, v10, 2, v1
	ds_bpermute_b32 v2, v1, v6
	ds_bpermute_b32 v3, v1, v7
	v_and_b32_e32 v12, 63, v10
	v_cmp_gt_u32_e32 vcc, 48, v12
	v_and_b32_e32 v11, 63, v0
	s_waitcnt lgkmcnt(0)
	v_cndmask_b32_e64 v4, 0, 16, vcc
	v_add_f64 v[2:3], v[6:7], v[2:3]
	v_add_lshl_u32 v6, v4, v10, 2
	ds_bpermute_b32 v4, v6, v2
	ds_bpermute_b32 v5, v6, v3
	v_cmp_gt_u32_e32 vcc, 56, v12
	s_barrier
	s_waitcnt lgkmcnt(0)
	v_add_f64 v[2:3], v[2:3], v[4:5]
	v_cndmask_b32_e64 v4, 0, 8, vcc
	v_add_lshl_u32 v7, v4, v10, 2
	ds_bpermute_b32 v4, v7, v2
	ds_bpermute_b32 v5, v7, v3
	v_cmp_gt_u32_e32 vcc, 60, v12
	s_waitcnt lgkmcnt(0)
	v_add_f64 v[2:3], v[2:3], v[4:5]
	v_cndmask_b32_e64 v4, 0, 4, vcc
	v_add_lshl_u32 v8, v4, v10, 2
	ds_bpermute_b32 v4, v8, v2
	ds_bpermute_b32 v5, v8, v3
	v_cmp_gt_u32_e32 vcc, 62, v12
	s_waitcnt lgkmcnt(0)
	v_add_f64 v[2:3], v[2:3], v[4:5]
	v_cndmask_b32_e64 v4, 0, 2, vcc
	v_add_lshl_u32 v9, v4, v10, 2
	ds_bpermute_b32 v4, v9, v2
	ds_bpermute_b32 v5, v9, v3
	v_cmp_ne_u32_e32 vcc, 63, v12
	s_waitcnt lgkmcnt(0)
	v_add_f64 v[2:3], v[2:3], v[4:5]
	v_addc_co_u32_e32 v4, vcc, 0, v10, vcc
	v_lshlrev_b32_e32 v10, 2, v4
	ds_bpermute_b32 v4, v10, v2
	ds_bpermute_b32 v5, v10, v3
	v_cmp_eq_u32_e32 vcc, 0, v11
	s_and_saveexec_b64 s[0:1], vcc
	s_cbranch_execz .LBB2_12
; %bb.11:
	v_lshrrev_b32_e32 v12, 3, v0
	s_waitcnt lgkmcnt(0)
	v_add_f64 v[2:3], v[2:3], v[4:5]
	ds_write_b64 v12, v[2:3]
.LBB2_12:
	s_or_b64 exec, exec, s[0:1]
	s_and_b32 s0, 0xffff, s26
	s_lshr_b32 s0, s0, 6
	v_cmp_gt_u32_e32 vcc, s0, v0
	v_mov_b64_e32 v[2:3], 0
	s_waitcnt lgkmcnt(0)
	s_barrier
	s_and_saveexec_b64 s[0:1], vcc
	s_cbranch_execnz .LBB2_16
; %bb.13:
	s_or_b64 exec, exec, s[0:1]
	v_cmp_gt_u32_e32 vcc, 64, v0
	s_and_saveexec_b64 s[0:1], vcc
	s_cbranch_execnz .LBB2_17
.LBB2_14:
	s_or_b64 exec, exec, s[0:1]
	v_cmp_eq_u32_e32 vcc, 0, v0
	s_and_saveexec_b64 s[0:1], vcc
	s_cbranch_execnz .LBB2_18
.LBB2_15:
	s_endpgm
.LBB2_16:
	v_lshlrev_b32_e32 v2, 3, v11
	ds_read_b64 v[2:3], v2
	s_or_b64 exec, exec, s[0:1]
	v_cmp_gt_u32_e32 vcc, 64, v0
	s_and_saveexec_b64 s[0:1], vcc
	s_cbranch_execz .LBB2_14
.LBB2_17:
	s_waitcnt lgkmcnt(0)
	ds_bpermute_b32 v4, v1, v2
	ds_bpermute_b32 v5, v1, v3
	s_waitcnt lgkmcnt(0)
	v_add_f64 v[2:3], v[2:3], v[4:5]
	ds_bpermute_b32 v4, v6, v2
	ds_bpermute_b32 v5, v6, v3
	s_waitcnt lgkmcnt(0)
	v_add_f64 v[2:3], v[2:3], v[4:5]
	ds_bpermute_b32 v4, v7, v2
	ds_bpermute_b32 v5, v7, v3
	s_waitcnt lgkmcnt(0)
	v_add_f64 v[2:3], v[2:3], v[4:5]
	ds_bpermute_b32 v4, v8, v2
	ds_bpermute_b32 v5, v8, v3
	s_waitcnt lgkmcnt(0)
	v_add_f64 v[2:3], v[2:3], v[4:5]
	ds_bpermute_b32 v4, v9, v2
	ds_bpermute_b32 v5, v9, v3
	s_waitcnt lgkmcnt(0)
	v_add_f64 v[2:3], v[2:3], v[4:5]
	ds_bpermute_b32 v4, v10, v2
	ds_bpermute_b32 v5, v10, v3
	s_waitcnt lgkmcnt(0)
	v_add_f64 v[2:3], v[2:3], v[4:5]
	s_or_b64 exec, exec, s[0:1]
	v_cmp_eq_u32_e32 vcc, 0, v0
	s_and_saveexec_b64 s[0:1], vcc
	s_cbranch_execz .LBB2_15
.LBB2_18:
	s_lshl_b64 s[0:1], s[2:3], 3
	s_add_u32 s0, s12, s0
	s_addc_u32 s1, s13, s1
	v_mov_b32_e32 v0, 0
	s_waitcnt lgkmcnt(0)
	global_store_dwordx2 v0, v[2:3], s[0:1]
	s_endpgm
.LBB2_19:
                                        ; implicit-def: $sgpr18_sgpr19
	s_branch .LBB2_2
.LBB2_20:
                                        ; implicit-def: $sgpr20_sgpr21
	s_branch .LBB2_5
	.section	.rodata,"a",@progbits
	.p2align	6, 0x0
	.amdhsa_kernel _ZN2at6native12_GLOBAL__N_122cdist_kernel_cuda_implIdNS1_5distsIdE3oneEEEvPT_PKS6_S9_S6_lllll
		.amdhsa_group_segment_fixed_size 2048
		.amdhsa_private_segment_fixed_size 0
		.amdhsa_kernarg_size 328
		.amdhsa_user_sgpr_count 2
		.amdhsa_user_sgpr_dispatch_ptr 0
		.amdhsa_user_sgpr_queue_ptr 0
		.amdhsa_user_sgpr_kernarg_segment_ptr 1
		.amdhsa_user_sgpr_dispatch_id 0
		.amdhsa_user_sgpr_kernarg_preload_length 0
		.amdhsa_user_sgpr_kernarg_preload_offset 0
		.amdhsa_user_sgpr_private_segment_size 0
		.amdhsa_uses_dynamic_stack 0
		.amdhsa_enable_private_segment 0
		.amdhsa_system_sgpr_workgroup_id_x 1
		.amdhsa_system_sgpr_workgroup_id_y 0
		.amdhsa_system_sgpr_workgroup_id_z 0
		.amdhsa_system_sgpr_workgroup_info 0
		.amdhsa_system_vgpr_workitem_id 0
		.amdhsa_next_free_vgpr 16
		.amdhsa_next_free_sgpr 37
		.amdhsa_accum_offset 16
		.amdhsa_reserve_vcc 1
		.amdhsa_float_round_mode_32 0
		.amdhsa_float_round_mode_16_64 0
		.amdhsa_float_denorm_mode_32 3
		.amdhsa_float_denorm_mode_16_64 3
		.amdhsa_dx10_clamp 1
		.amdhsa_ieee_mode 1
		.amdhsa_fp16_overflow 0
		.amdhsa_tg_split 0
		.amdhsa_exception_fp_ieee_invalid_op 0
		.amdhsa_exception_fp_denorm_src 0
		.amdhsa_exception_fp_ieee_div_zero 0
		.amdhsa_exception_fp_ieee_overflow 0
		.amdhsa_exception_fp_ieee_underflow 0
		.amdhsa_exception_fp_ieee_inexact 0
		.amdhsa_exception_int_div_zero 0
	.end_amdhsa_kernel
	.section	.text._ZN2at6native12_GLOBAL__N_122cdist_kernel_cuda_implIdNS1_5distsIdE3oneEEEvPT_PKS6_S9_S6_lllll,"axG",@progbits,_ZN2at6native12_GLOBAL__N_122cdist_kernel_cuda_implIdNS1_5distsIdE3oneEEEvPT_PKS6_S9_S6_lllll,comdat
.Lfunc_end2:
	.size	_ZN2at6native12_GLOBAL__N_122cdist_kernel_cuda_implIdNS1_5distsIdE3oneEEEvPT_PKS6_S9_S6_lllll, .Lfunc_end2-_ZN2at6native12_GLOBAL__N_122cdist_kernel_cuda_implIdNS1_5distsIdE3oneEEEvPT_PKS6_S9_S6_lllll
                                        ; -- End function
	.set _ZN2at6native12_GLOBAL__N_122cdist_kernel_cuda_implIdNS1_5distsIdE3oneEEEvPT_PKS6_S9_S6_lllll.num_vgpr, 16
	.set _ZN2at6native12_GLOBAL__N_122cdist_kernel_cuda_implIdNS1_5distsIdE3oneEEEvPT_PKS6_S9_S6_lllll.num_agpr, 0
	.set _ZN2at6native12_GLOBAL__N_122cdist_kernel_cuda_implIdNS1_5distsIdE3oneEEEvPT_PKS6_S9_S6_lllll.numbered_sgpr, 37
	.set _ZN2at6native12_GLOBAL__N_122cdist_kernel_cuda_implIdNS1_5distsIdE3oneEEEvPT_PKS6_S9_S6_lllll.num_named_barrier, 0
	.set _ZN2at6native12_GLOBAL__N_122cdist_kernel_cuda_implIdNS1_5distsIdE3oneEEEvPT_PKS6_S9_S6_lllll.private_seg_size, 0
	.set _ZN2at6native12_GLOBAL__N_122cdist_kernel_cuda_implIdNS1_5distsIdE3oneEEEvPT_PKS6_S9_S6_lllll.uses_vcc, 1
	.set _ZN2at6native12_GLOBAL__N_122cdist_kernel_cuda_implIdNS1_5distsIdE3oneEEEvPT_PKS6_S9_S6_lllll.uses_flat_scratch, 0
	.set _ZN2at6native12_GLOBAL__N_122cdist_kernel_cuda_implIdNS1_5distsIdE3oneEEEvPT_PKS6_S9_S6_lllll.has_dyn_sized_stack, 0
	.set _ZN2at6native12_GLOBAL__N_122cdist_kernel_cuda_implIdNS1_5distsIdE3oneEEEvPT_PKS6_S9_S6_lllll.has_recursion, 0
	.set _ZN2at6native12_GLOBAL__N_122cdist_kernel_cuda_implIdNS1_5distsIdE3oneEEEvPT_PKS6_S9_S6_lllll.has_indirect_call, 0
	.section	.AMDGPU.csdata,"",@progbits
; Kernel info:
; codeLenInByte = 2388
; TotalNumSgprs: 43
; NumVgprs: 16
; NumAgprs: 0
; TotalNumVgprs: 16
; ScratchSize: 0
; MemoryBound: 0
; FloatMode: 240
; IeeeMode: 1
; LDSByteSize: 2048 bytes/workgroup (compile time only)
; SGPRBlocks: 5
; VGPRBlocks: 1
; NumSGPRsForWavesPerEU: 43
; NumVGPRsForWavesPerEU: 16
; AccumOffset: 16
; Occupancy: 8
; WaveLimiterHint : 0
; COMPUTE_PGM_RSRC2:SCRATCH_EN: 0
; COMPUTE_PGM_RSRC2:USER_SGPR: 2
; COMPUTE_PGM_RSRC2:TRAP_HANDLER: 0
; COMPUTE_PGM_RSRC2:TGID_X_EN: 1
; COMPUTE_PGM_RSRC2:TGID_Y_EN: 0
; COMPUTE_PGM_RSRC2:TGID_Z_EN: 0
; COMPUTE_PGM_RSRC2:TIDIG_COMP_CNT: 0
; COMPUTE_PGM_RSRC3_GFX90A:ACCUM_OFFSET: 3
; COMPUTE_PGM_RSRC3_GFX90A:TG_SPLIT: 0
	.section	.text._ZN2at6native12_GLOBAL__N_122cdist_kernel_cuda_implIdNS1_5distsIdE3twoEEEvPT_PKS6_S9_S6_lllll,"axG",@progbits,_ZN2at6native12_GLOBAL__N_122cdist_kernel_cuda_implIdNS1_5distsIdE3twoEEEvPT_PKS6_S9_S6_lllll,comdat
	.globl	_ZN2at6native12_GLOBAL__N_122cdist_kernel_cuda_implIdNS1_5distsIdE3twoEEEvPT_PKS6_S9_S6_lllll ; -- Begin function _ZN2at6native12_GLOBAL__N_122cdist_kernel_cuda_implIdNS1_5distsIdE3twoEEEvPT_PKS6_S9_S6_lllll
	.p2align	8
	.type	_ZN2at6native12_GLOBAL__N_122cdist_kernel_cuda_implIdNS1_5distsIdE3twoEEEvPT_PKS6_S9_S6_lllll,@function
_ZN2at6native12_GLOBAL__N_122cdist_kernel_cuda_implIdNS1_5distsIdE3twoEEEvPT_PKS6_S9_S6_lllll: ; @_ZN2at6native12_GLOBAL__N_122cdist_kernel_cuda_implIdNS1_5distsIdE3twoEEEvPT_PKS6_S9_S6_lllll
; %bb.0:
	s_load_dwordx8 s[4:11], s[0:1], 0x20
	s_load_dwordx2 s[16:17], s[0:1], 0x40
	s_mov_b32 s3, 0
	s_mov_b32 s12, s3
	s_waitcnt lgkmcnt(0)
	s_mov_b32 s13, s9
	s_cmp_lg_u64 s[12:13], 0
	s_cbranch_scc0 .LBB3_19
; %bb.1:
	s_ashr_i32 s12, s9, 31
	s_add_u32 s14, s8, s12
	s_mov_b32 s13, s12
	s_addc_u32 s15, s9, s12
	s_xor_b64 s[18:19], s[14:15], s[12:13]
	v_cvt_f32_u32_e32 v1, s18
	v_cvt_f32_u32_e32 v2, s19
	s_sub_u32 s22, 0, s18
	s_subb_u32 s23, 0, s19
	v_fmamk_f32 v1, v2, 0x4f800000, v1
	v_rcp_f32_e32 v1, v1
	s_nop 0
	v_mul_f32_e32 v1, 0x5f7ffffc, v1
	v_mul_f32_e32 v2, 0x2f800000, v1
	v_trunc_f32_e32 v2, v2
	v_fmamk_f32 v1, v2, 0xcf800000, v1
	v_cvt_u32_f32_e32 v2, v2
	v_cvt_u32_f32_e32 v1, v1
	v_readfirstlane_b32 s24, v2
	v_readfirstlane_b32 s20, v1
	s_mul_i32 s21, s22, s24
	s_mul_hi_u32 s26, s22, s20
	s_mul_i32 s25, s23, s20
	s_add_i32 s21, s26, s21
	s_add_i32 s21, s21, s25
	s_mul_i32 s27, s22, s20
	s_mul_i32 s26, s20, s21
	s_mul_hi_u32 s28, s20, s27
	s_mul_hi_u32 s25, s20, s21
	s_add_u32 s26, s28, s26
	s_addc_u32 s25, 0, s25
	s_mul_hi_u32 s29, s24, s27
	s_mul_i32 s27, s24, s27
	s_add_u32 s26, s26, s27
	s_mul_hi_u32 s28, s24, s21
	s_addc_u32 s25, s25, s29
	s_addc_u32 s26, s28, 0
	s_mul_i32 s21, s24, s21
	s_add_u32 s21, s25, s21
	s_addc_u32 s25, 0, s26
	s_add_u32 s26, s20, s21
	s_cselect_b64 s[20:21], -1, 0
	s_cmp_lg_u64 s[20:21], 0
	s_addc_u32 s24, s24, s25
	s_mul_i32 s20, s22, s24
	s_mul_hi_u32 s21, s22, s26
	s_add_i32 s20, s21, s20
	s_mul_i32 s23, s23, s26
	s_add_i32 s20, s20, s23
	s_mul_i32 s22, s22, s26
	s_mul_hi_u32 s23, s24, s22
	s_mul_i32 s25, s24, s22
	s_mul_i32 s28, s26, s20
	s_mul_hi_u32 s22, s26, s22
	s_mul_hi_u32 s27, s26, s20
	s_add_u32 s22, s22, s28
	s_addc_u32 s27, 0, s27
	s_add_u32 s22, s22, s25
	s_mul_hi_u32 s21, s24, s20
	s_addc_u32 s22, s27, s23
	s_addc_u32 s21, s21, 0
	s_mul_i32 s20, s24, s20
	s_add_u32 s20, s22, s20
	s_addc_u32 s22, 0, s21
	s_add_u32 s23, s26, s20
	s_cselect_b64 s[20:21], -1, 0
	s_cmp_lg_u64 s[20:21], 0
	s_addc_u32 s22, s24, s22
	s_add_u32 s20, s2, 0
	s_addc_u32 s21, 0, 0
	s_xor_b64 s[20:21], s[20:21], 0
	s_mul_i32 s25, s20, s22
	s_mul_hi_u32 s26, s20, s23
	s_mul_hi_u32 s24, s20, s22
	s_add_u32 s25, s26, s25
	s_addc_u32 s24, 0, s24
	s_mul_hi_u32 s27, s21, s23
	s_mul_i32 s23, s21, s23
	s_add_u32 s23, s25, s23
	s_mul_hi_u32 s26, s21, s22
	s_addc_u32 s23, s24, s27
	s_addc_u32 s24, s26, 0
	s_mul_i32 s22, s21, s22
	s_add_u32 s26, s23, s22
	s_addc_u32 s27, 0, s24
	s_mul_i32 s22, s18, s27
	s_mul_hi_u32 s23, s18, s26
	s_add_i32 s22, s23, s22
	s_mul_i32 s23, s19, s26
	s_add_i32 s28, s22, s23
	s_sub_i32 s24, s21, s28
	s_mul_i32 s22, s18, s26
	s_sub_u32 s20, s20, s22
	s_cselect_b64 s[22:23], -1, 0
	s_cmp_lg_u64 s[22:23], 0
	s_subb_u32 s29, s24, s19
	s_sub_u32 s30, s20, s18
	s_cselect_b64 s[24:25], -1, 0
	s_cmp_lg_u64 s[24:25], 0
	s_subb_u32 s24, s29, 0
	s_cmp_ge_u32 s24, s19
	s_cselect_b32 s25, -1, 0
	s_cmp_ge_u32 s30, s18
	s_cselect_b32 s29, -1, 0
	s_cmp_eq_u32 s24, s19
	s_cselect_b32 s24, s29, s25
	s_add_u32 s25, s26, 1
	s_addc_u32 s29, s27, 0
	s_add_u32 s30, s26, 2
	s_addc_u32 s31, s27, 0
	s_cmp_lg_u32 s24, 0
	s_cselect_b32 s24, s30, s25
	s_cselect_b32 s25, s31, s29
	s_cmp_lg_u64 s[22:23], 0
	s_subb_u32 s21, s21, s28
	s_cmp_ge_u32 s21, s19
	s_cselect_b32 s22, -1, 0
	s_cmp_ge_u32 s20, s18
	s_cselect_b32 s18, -1, 0
	s_cmp_eq_u32 s21, s19
	s_cselect_b32 s18, s18, s22
	s_cmp_lg_u32 s18, 0
	s_cselect_b32 s19, s25, s27
	s_cselect_b32 s18, s24, s26
	s_xor_b64 s[12:13], 0, s[12:13]
	s_xor_b64 s[18:19], s[18:19], s[12:13]
	s_sub_u32 s18, s18, s12
	s_subb_u32 s19, s19, s13
	s_cbranch_execnz .LBB3_3
.LBB3_2:
	v_cvt_f32_u32_e32 v1, s8
	s_sub_i32 s12, 0, s8
	s_mov_b32 s19, 0
	v_rcp_iflag_f32_e32 v1, v1
	s_nop 0
	v_mul_f32_e32 v1, 0x4f7ffffe, v1
	v_cvt_u32_f32_e32 v1, v1
	s_nop 0
	v_readfirstlane_b32 s13, v1
	s_mul_i32 s12, s12, s13
	s_mul_hi_u32 s12, s13, s12
	s_add_i32 s13, s13, s12
	s_mul_hi_u32 s12, s2, s13
	s_mul_i32 s14, s12, s8
	s_sub_i32 s14, s2, s14
	s_add_i32 s13, s12, 1
	s_sub_i32 s15, s14, s8
	s_cmp_ge_u32 s14, s8
	s_cselect_b32 s12, s13, s12
	s_cselect_b32 s14, s15, s14
	s_add_i32 s13, s12, 1
	s_cmp_ge_u32 s14, s8
	s_cselect_b32 s18, s13, s12
.LBB3_3:
	s_mul_i32 s9, s18, s9
	s_mul_hi_u32 s12, s18, s8
	s_add_i32 s9, s12, s9
	s_mul_i32 s12, s19, s8
	s_add_i32 s9, s9, s12
	s_mul_i32 s8, s18, s8
	s_sub_u32 s8, s2, s8
	s_subb_u32 s9, 0, s9
	s_or_b64 s[12:13], s[8:9], s[4:5]
	s_mov_b32 s12, 0
	s_cmp_lg_u64 s[12:13], 0
	s_cbranch_scc0 .LBB3_20
; %bb.4:
	s_ashr_i32 s12, s5, 31
	s_add_u32 s14, s4, s12
	s_mov_b32 s13, s12
	s_addc_u32 s15, s5, s12
	s_xor_b64 s[20:21], s[14:15], s[12:13]
	v_cvt_f32_u32_e32 v1, s20
	v_cvt_f32_u32_e32 v2, s21
	s_sub_u32 s24, 0, s20
	s_subb_u32 s25, 0, s21
	v_fmamk_f32 v1, v2, 0x4f800000, v1
	v_rcp_f32_e32 v1, v1
	s_nop 0
	v_mul_f32_e32 v1, 0x5f7ffffc, v1
	v_mul_f32_e32 v2, 0x2f800000, v1
	v_trunc_f32_e32 v2, v2
	v_fmamk_f32 v1, v2, 0xcf800000, v1
	v_cvt_u32_f32_e32 v2, v2
	v_cvt_u32_f32_e32 v1, v1
	v_readfirstlane_b32 s26, v2
	v_readfirstlane_b32 s22, v1
	s_mul_i32 s23, s24, s26
	s_mul_hi_u32 s28, s24, s22
	s_mul_i32 s27, s25, s22
	s_add_i32 s23, s28, s23
	s_add_i32 s23, s23, s27
	s_mul_i32 s29, s24, s22
	s_mul_i32 s28, s22, s23
	s_mul_hi_u32 s30, s22, s29
	s_mul_hi_u32 s27, s22, s23
	s_add_u32 s28, s30, s28
	s_addc_u32 s27, 0, s27
	s_mul_hi_u32 s31, s26, s29
	s_mul_i32 s29, s26, s29
	s_add_u32 s28, s28, s29
	s_mul_hi_u32 s30, s26, s23
	s_addc_u32 s27, s27, s31
	s_addc_u32 s28, s30, 0
	s_mul_i32 s23, s26, s23
	s_add_u32 s23, s27, s23
	s_addc_u32 s27, 0, s28
	s_add_u32 s28, s22, s23
	s_cselect_b64 s[22:23], -1, 0
	s_cmp_lg_u64 s[22:23], 0
	s_addc_u32 s26, s26, s27
	s_mul_i32 s22, s24, s26
	s_mul_hi_u32 s23, s24, s28
	s_add_i32 s22, s23, s22
	s_mul_i32 s25, s25, s28
	s_add_i32 s22, s22, s25
	s_mul_i32 s24, s24, s28
	s_mul_hi_u32 s25, s26, s24
	s_mul_i32 s27, s26, s24
	s_mul_i32 s30, s28, s22
	s_mul_hi_u32 s24, s28, s24
	s_mul_hi_u32 s29, s28, s22
	s_add_u32 s24, s24, s30
	s_addc_u32 s29, 0, s29
	s_add_u32 s24, s24, s27
	s_mul_hi_u32 s23, s26, s22
	s_addc_u32 s24, s29, s25
	s_addc_u32 s23, s23, 0
	s_mul_i32 s22, s26, s22
	s_add_u32 s22, s24, s22
	s_addc_u32 s24, 0, s23
	s_add_u32 s27, s28, s22
	s_cselect_b64 s[22:23], -1, 0
	s_cmp_lg_u64 s[22:23], 0
	s_addc_u32 s26, s26, s24
	s_ashr_i32 s22, s9, 31
	s_add_u32 s24, s8, s22
	s_mov_b32 s23, s22
	s_addc_u32 s25, s9, s22
	s_xor_b64 s[24:25], s[24:25], s[22:23]
	s_mul_i32 s29, s24, s26
	s_mul_hi_u32 s30, s24, s27
	s_mul_hi_u32 s28, s24, s26
	s_add_u32 s29, s30, s29
	s_addc_u32 s28, 0, s28
	s_mul_hi_u32 s31, s25, s27
	s_mul_i32 s27, s25, s27
	s_add_u32 s27, s29, s27
	s_mul_hi_u32 s30, s25, s26
	s_addc_u32 s27, s28, s31
	s_addc_u32 s28, s30, 0
	s_mul_i32 s26, s25, s26
	s_add_u32 s30, s27, s26
	s_addc_u32 s31, 0, s28
	s_mul_i32 s26, s20, s31
	s_mul_hi_u32 s27, s20, s30
	s_add_i32 s26, s27, s26
	s_mul_i32 s27, s21, s30
	s_add_i32 s33, s26, s27
	s_sub_i32 s28, s25, s33
	s_mul_i32 s26, s20, s30
	s_sub_u32 s24, s24, s26
	s_cselect_b64 s[26:27], -1, 0
	s_cmp_lg_u64 s[26:27], 0
	s_subb_u32 s34, s28, s21
	s_sub_u32 s35, s24, s20
	s_cselect_b64 s[28:29], -1, 0
	s_cmp_lg_u64 s[28:29], 0
	s_subb_u32 s28, s34, 0
	s_cmp_ge_u32 s28, s21
	s_cselect_b32 s29, -1, 0
	s_cmp_ge_u32 s35, s20
	s_cselect_b32 s34, -1, 0
	s_cmp_eq_u32 s28, s21
	s_cselect_b32 s28, s34, s29
	s_add_u32 s29, s30, 1
	s_addc_u32 s34, s31, 0
	s_add_u32 s35, s30, 2
	s_addc_u32 s36, s31, 0
	s_cmp_lg_u32 s28, 0
	s_cselect_b32 s28, s35, s29
	s_cselect_b32 s29, s36, s34
	s_cmp_lg_u64 s[26:27], 0
	s_subb_u32 s25, s25, s33
	s_cmp_ge_u32 s25, s21
	s_cselect_b32 s26, -1, 0
	s_cmp_ge_u32 s24, s20
	s_cselect_b32 s20, -1, 0
	s_cmp_eq_u32 s25, s21
	s_cselect_b32 s20, s20, s26
	s_cmp_lg_u32 s20, 0
	s_cselect_b32 s21, s29, s31
	s_cselect_b32 s20, s28, s30
	s_xor_b64 s[12:13], s[22:23], s[12:13]
	s_xor_b64 s[20:21], s[20:21], s[12:13]
	s_sub_u32 s20, s20, s12
	s_subb_u32 s21, s21, s13
	s_cbranch_execnz .LBB3_6
.LBB3_5:
	v_cvt_f32_u32_e32 v1, s4
	s_sub_i32 s12, 0, s4
	s_mov_b32 s21, 0
	v_rcp_iflag_f32_e32 v1, v1
	s_nop 0
	v_mul_f32_e32 v1, 0x4f7ffffe, v1
	v_cvt_u32_f32_e32 v1, v1
	s_nop 0
	v_readfirstlane_b32 s13, v1
	s_mul_i32 s12, s12, s13
	s_mul_hi_u32 s12, s13, s12
	s_add_i32 s13, s13, s12
	s_mul_hi_u32 s12, s8, s13
	s_mul_i32 s14, s12, s4
	s_sub_i32 s14, s8, s14
	s_add_i32 s13, s12, 1
	s_sub_i32 s15, s14, s4
	s_cmp_ge_u32 s14, s4
	s_cselect_b32 s12, s13, s12
	s_cselect_b32 s14, s15, s14
	s_add_i32 s13, s12, 1
	s_cmp_ge_u32 s14, s4
	s_cselect_b32 s20, s13, s12
.LBB3_6:
	s_load_dwordx4 s[12:15], s[0:1], 0x0
	s_load_dwordx2 s[24:25], s[0:1], 0x10
	s_load_dword s26, s[0:1], 0x54
	v_mov_b32_e32 v1, 0
	v_cmp_gt_i64_e32 vcc, s[6:7], v[0:1]
	v_mov_b64_e32 v[6:7], 0
	s_and_saveexec_b64 s[0:1], vcc
	s_cbranch_execz .LBB3_10
; %bb.7:
	s_mul_i32 s11, s18, s11
	s_mul_hi_u32 s22, s18, s10
	s_add_i32 s11, s22, s11
	s_mul_i32 s22, s19, s10
	s_add_i32 s11, s11, s22
	s_mul_i32 s10, s18, s10
	s_lshl_b64 s[10:11], s[10:11], 3
	s_waitcnt lgkmcnt(0)
	s_add_u32 s14, s14, s10
	s_addc_u32 s15, s15, s11
	s_mul_i32 s10, s20, s7
	s_mul_hi_u32 s11, s20, s6
	s_add_i32 s10, s11, s10
	s_mul_i32 s11, s21, s6
	s_add_i32 s11, s10, s11
	s_mul_i32 s10, s20, s6
	s_lshl_b64 s[10:11], s[10:11], 3
	s_add_u32 s10, s14, s10
	s_addc_u32 s11, s15, s11
	s_lshl_b64 s[14:15], s[6:7], 3
	s_add_u32 s14, s10, s14
	s_mul_i32 s17, s18, s17
	s_mul_hi_u32 s22, s18, s16
	s_addc_u32 s15, s11, s15
	s_add_i32 s17, s22, s17
	s_mul_i32 s19, s19, s16
	s_add_i32 s17, s17, s19
	s_mul_i32 s16, s18, s16
	s_lshl_b64 s[16:17], s[16:17], 3
	s_add_u32 s16, s24, s16
	s_mul_i32 s5, s20, s5
	s_mul_hi_u32 s18, s20, s4
	s_addc_u32 s17, s25, s17
	s_add_i32 s5, s18, s5
	s_mul_i32 s18, s21, s4
	s_add_i32 s5, s5, s18
	s_mul_i32 s4, s20, s4
	s_sub_u32 s4, s8, s4
	s_subb_u32 s5, s9, s5
	s_mul_i32 s7, s4, s7
	s_mul_hi_u32 s8, s4, s6
	s_add_i32 s7, s8, s7
	s_mul_i32 s5, s5, s6
	s_add_i32 s5, s7, s5
	s_mul_i32 s4, s4, s6
	s_lshl_b64 s[4:5], s[4:5], 3
	s_add_u32 s4, s16, s4
	v_lshlrev_b32_e32 v2, 3, v0
	s_mov_b32 s23, 0
	v_mov_b32_e32 v3, v1
	s_addc_u32 s5, s17, s5
	s_and_b32 s8, s26, 0xffff
	v_lshl_add_u64 v[4:5], s[10:11], 0, v[2:3]
	s_lshl_b32 s22, s8, 3
	v_mov_b64_e32 v[6:7], 0
	s_mov_b64 s[6:7], 0
	s_lshl_b32 s8, s8, 3
	s_mov_b32 s9, s23
.LBB3_8:                                ; =>This Inner Loop Header: Depth=1
	v_lshl_add_u64 v[10:11], s[10:11], 0, v[2:3]
	v_lshl_add_u64 v[8:9], s[4:5], 0, v[2:3]
	global_load_dwordx2 v[12:13], v[10:11], off
	global_load_dwordx2 v[14:15], v[8:9], off
	v_lshl_add_u64 v[4:5], v[4:5], 0, s[8:9]
	v_cmp_le_u64_e32 vcc, s[14:15], v[4:5]
	v_lshl_add_u64 v[2:3], v[2:3], 0, s[22:23]
	s_or_b64 s[6:7], vcc, s[6:7]
	s_waitcnt vmcnt(0)
	v_add_f64 v[8:9], v[12:13], -v[14:15]
	v_fmac_f64_e32 v[6:7], v[8:9], v[8:9]
	s_andn2_b64 exec, exec, s[6:7]
	s_cbranch_execnz .LBB3_8
; %bb.9:
	s_or_b64 exec, exec, s[6:7]
.LBB3_10:
	s_or_b64 exec, exec, s[0:1]
	v_mbcnt_lo_u32_b32 v1, -1, 0
	v_mbcnt_hi_u32_b32 v10, -1, v1
	v_mov_b32_e32 v1, 0x80
	v_lshl_or_b32 v1, v10, 2, v1
	ds_bpermute_b32 v2, v1, v6
	ds_bpermute_b32 v3, v1, v7
	v_and_b32_e32 v12, 63, v10
	v_cmp_gt_u32_e32 vcc, 48, v12
	v_and_b32_e32 v11, 63, v0
	s_waitcnt lgkmcnt(0)
	v_cndmask_b32_e64 v4, 0, 16, vcc
	v_add_f64 v[2:3], v[6:7], v[2:3]
	v_add_lshl_u32 v6, v4, v10, 2
	ds_bpermute_b32 v4, v6, v2
	ds_bpermute_b32 v5, v6, v3
	v_cmp_gt_u32_e32 vcc, 56, v12
	s_barrier
	s_waitcnt lgkmcnt(0)
	v_add_f64 v[2:3], v[2:3], v[4:5]
	v_cndmask_b32_e64 v4, 0, 8, vcc
	v_add_lshl_u32 v7, v4, v10, 2
	ds_bpermute_b32 v4, v7, v2
	ds_bpermute_b32 v5, v7, v3
	v_cmp_gt_u32_e32 vcc, 60, v12
	s_waitcnt lgkmcnt(0)
	v_add_f64 v[2:3], v[2:3], v[4:5]
	v_cndmask_b32_e64 v4, 0, 4, vcc
	v_add_lshl_u32 v8, v4, v10, 2
	ds_bpermute_b32 v4, v8, v2
	ds_bpermute_b32 v5, v8, v3
	v_cmp_gt_u32_e32 vcc, 62, v12
	s_waitcnt lgkmcnt(0)
	v_add_f64 v[2:3], v[2:3], v[4:5]
	v_cndmask_b32_e64 v4, 0, 2, vcc
	v_add_lshl_u32 v9, v4, v10, 2
	ds_bpermute_b32 v4, v9, v2
	ds_bpermute_b32 v5, v9, v3
	v_cmp_ne_u32_e32 vcc, 63, v12
	s_waitcnt lgkmcnt(0)
	v_add_f64 v[2:3], v[2:3], v[4:5]
	v_addc_co_u32_e32 v4, vcc, 0, v10, vcc
	v_lshlrev_b32_e32 v10, 2, v4
	ds_bpermute_b32 v4, v10, v2
	ds_bpermute_b32 v5, v10, v3
	v_cmp_eq_u32_e32 vcc, 0, v11
	s_and_saveexec_b64 s[0:1], vcc
	s_cbranch_execz .LBB3_12
; %bb.11:
	v_lshrrev_b32_e32 v12, 3, v0
	s_waitcnt lgkmcnt(0)
	v_add_f64 v[2:3], v[2:3], v[4:5]
	ds_write_b64 v12, v[2:3]
.LBB3_12:
	s_or_b64 exec, exec, s[0:1]
	s_and_b32 s0, 0xffff, s26
	s_lshr_b32 s0, s0, 6
	v_cmp_gt_u32_e32 vcc, s0, v0
	v_mov_b64_e32 v[2:3], 0
	s_waitcnt lgkmcnt(0)
	s_barrier
	s_and_saveexec_b64 s[0:1], vcc
	s_cbranch_execnz .LBB3_16
; %bb.13:
	s_or_b64 exec, exec, s[0:1]
	v_cmp_gt_u32_e32 vcc, 64, v0
	s_and_saveexec_b64 s[0:1], vcc
	s_cbranch_execnz .LBB3_17
.LBB3_14:
	s_or_b64 exec, exec, s[0:1]
	v_cmp_eq_u32_e32 vcc, 0, v0
	s_and_saveexec_b64 s[0:1], vcc
	s_cbranch_execnz .LBB3_18
.LBB3_15:
	s_endpgm
.LBB3_16:
	v_lshlrev_b32_e32 v2, 3, v11
	ds_read_b64 v[2:3], v2
	s_or_b64 exec, exec, s[0:1]
	v_cmp_gt_u32_e32 vcc, 64, v0
	s_and_saveexec_b64 s[0:1], vcc
	s_cbranch_execz .LBB3_14
.LBB3_17:
	s_waitcnt lgkmcnt(0)
	ds_bpermute_b32 v4, v1, v2
	ds_bpermute_b32 v5, v1, v3
	s_waitcnt lgkmcnt(0)
	v_add_f64 v[2:3], v[2:3], v[4:5]
	ds_bpermute_b32 v4, v6, v2
	ds_bpermute_b32 v5, v6, v3
	s_waitcnt lgkmcnt(0)
	v_add_f64 v[2:3], v[2:3], v[4:5]
	;; [unrolled: 4-line block ×6, first 2 shown]
	s_or_b64 exec, exec, s[0:1]
	v_cmp_eq_u32_e32 vcc, 0, v0
	s_and_saveexec_b64 s[0:1], vcc
	s_cbranch_execz .LBB3_15
.LBB3_18:
	s_lshl_b64 s[0:1], s[2:3], 3
	s_mov_b32 s2, 0
	s_brev_b32 s3, 8
	v_mov_b32_e32 v0, 0x100
	s_waitcnt lgkmcnt(0)
	v_cmp_gt_f64_e32 vcc, s[2:3], v[2:3]
	s_add_u32 s0, s12, s0
	s_addc_u32 s1, s13, s1
	v_cndmask_b32_e32 v0, 0, v0, vcc
	v_ldexp_f64 v[0:1], v[2:3], v0
	v_rsq_f64_e32 v[2:3], v[0:1]
	v_mov_b32_e32 v10, 0
	v_mul_f64 v[4:5], v[0:1], v[2:3]
	v_mul_f64 v[2:3], v[2:3], 0.5
	v_fma_f64 v[6:7], -v[2:3], v[4:5], 0.5
	v_fmac_f64_e32 v[4:5], v[4:5], v[6:7]
	v_fma_f64 v[8:9], -v[4:5], v[4:5], v[0:1]
	v_fmac_f64_e32 v[2:3], v[2:3], v[6:7]
	v_fmac_f64_e32 v[4:5], v[8:9], v[2:3]
	v_fma_f64 v[6:7], -v[4:5], v[4:5], v[0:1]
	v_fmac_f64_e32 v[4:5], v[6:7], v[2:3]
	v_mov_b32_e32 v2, 0xffffff80
	v_cndmask_b32_e32 v2, 0, v2, vcc
	v_ldexp_f64 v[2:3], v[4:5], v2
	v_mov_b32_e32 v4, 0x260
	v_cmp_class_f64_e32 vcc, v[0:1], v4
	s_nop 1
	v_cndmask_b32_e32 v1, v3, v1, vcc
	v_cndmask_b32_e32 v0, v2, v0, vcc
	global_store_dwordx2 v10, v[0:1], s[0:1]
	s_endpgm
.LBB3_19:
                                        ; implicit-def: $sgpr18_sgpr19
	s_branch .LBB3_2
.LBB3_20:
                                        ; implicit-def: $sgpr20_sgpr21
	s_branch .LBB3_5
	.section	.rodata,"a",@progbits
	.p2align	6, 0x0
	.amdhsa_kernel _ZN2at6native12_GLOBAL__N_122cdist_kernel_cuda_implIdNS1_5distsIdE3twoEEEvPT_PKS6_S9_S6_lllll
		.amdhsa_group_segment_fixed_size 2048
		.amdhsa_private_segment_fixed_size 0
		.amdhsa_kernarg_size 328
		.amdhsa_user_sgpr_count 2
		.amdhsa_user_sgpr_dispatch_ptr 0
		.amdhsa_user_sgpr_queue_ptr 0
		.amdhsa_user_sgpr_kernarg_segment_ptr 1
		.amdhsa_user_sgpr_dispatch_id 0
		.amdhsa_user_sgpr_kernarg_preload_length 0
		.amdhsa_user_sgpr_kernarg_preload_offset 0
		.amdhsa_user_sgpr_private_segment_size 0
		.amdhsa_uses_dynamic_stack 0
		.amdhsa_enable_private_segment 0
		.amdhsa_system_sgpr_workgroup_id_x 1
		.amdhsa_system_sgpr_workgroup_id_y 0
		.amdhsa_system_sgpr_workgroup_id_z 0
		.amdhsa_system_sgpr_workgroup_info 0
		.amdhsa_system_vgpr_workitem_id 0
		.amdhsa_next_free_vgpr 16
		.amdhsa_next_free_sgpr 37
		.amdhsa_accum_offset 16
		.amdhsa_reserve_vcc 1
		.amdhsa_float_round_mode_32 0
		.amdhsa_float_round_mode_16_64 0
		.amdhsa_float_denorm_mode_32 3
		.amdhsa_float_denorm_mode_16_64 3
		.amdhsa_dx10_clamp 1
		.amdhsa_ieee_mode 1
		.amdhsa_fp16_overflow 0
		.amdhsa_tg_split 0
		.amdhsa_exception_fp_ieee_invalid_op 0
		.amdhsa_exception_fp_denorm_src 0
		.amdhsa_exception_fp_ieee_div_zero 0
		.amdhsa_exception_fp_ieee_overflow 0
		.amdhsa_exception_fp_ieee_underflow 0
		.amdhsa_exception_fp_ieee_inexact 0
		.amdhsa_exception_int_div_zero 0
	.end_amdhsa_kernel
	.section	.text._ZN2at6native12_GLOBAL__N_122cdist_kernel_cuda_implIdNS1_5distsIdE3twoEEEvPT_PKS6_S9_S6_lllll,"axG",@progbits,_ZN2at6native12_GLOBAL__N_122cdist_kernel_cuda_implIdNS1_5distsIdE3twoEEEvPT_PKS6_S9_S6_lllll,comdat
.Lfunc_end3:
	.size	_ZN2at6native12_GLOBAL__N_122cdist_kernel_cuda_implIdNS1_5distsIdE3twoEEEvPT_PKS6_S9_S6_lllll, .Lfunc_end3-_ZN2at6native12_GLOBAL__N_122cdist_kernel_cuda_implIdNS1_5distsIdE3twoEEEvPT_PKS6_S9_S6_lllll
                                        ; -- End function
	.set _ZN2at6native12_GLOBAL__N_122cdist_kernel_cuda_implIdNS1_5distsIdE3twoEEEvPT_PKS6_S9_S6_lllll.num_vgpr, 16
	.set _ZN2at6native12_GLOBAL__N_122cdist_kernel_cuda_implIdNS1_5distsIdE3twoEEEvPT_PKS6_S9_S6_lllll.num_agpr, 0
	.set _ZN2at6native12_GLOBAL__N_122cdist_kernel_cuda_implIdNS1_5distsIdE3twoEEEvPT_PKS6_S9_S6_lllll.numbered_sgpr, 37
	.set _ZN2at6native12_GLOBAL__N_122cdist_kernel_cuda_implIdNS1_5distsIdE3twoEEEvPT_PKS6_S9_S6_lllll.num_named_barrier, 0
	.set _ZN2at6native12_GLOBAL__N_122cdist_kernel_cuda_implIdNS1_5distsIdE3twoEEEvPT_PKS6_S9_S6_lllll.private_seg_size, 0
	.set _ZN2at6native12_GLOBAL__N_122cdist_kernel_cuda_implIdNS1_5distsIdE3twoEEEvPT_PKS6_S9_S6_lllll.uses_vcc, 1
	.set _ZN2at6native12_GLOBAL__N_122cdist_kernel_cuda_implIdNS1_5distsIdE3twoEEEvPT_PKS6_S9_S6_lllll.uses_flat_scratch, 0
	.set _ZN2at6native12_GLOBAL__N_122cdist_kernel_cuda_implIdNS1_5distsIdE3twoEEEvPT_PKS6_S9_S6_lllll.has_dyn_sized_stack, 0
	.set _ZN2at6native12_GLOBAL__N_122cdist_kernel_cuda_implIdNS1_5distsIdE3twoEEEvPT_PKS6_S9_S6_lllll.has_recursion, 0
	.set _ZN2at6native12_GLOBAL__N_122cdist_kernel_cuda_implIdNS1_5distsIdE3twoEEEvPT_PKS6_S9_S6_lllll.has_indirect_call, 0
	.section	.AMDGPU.csdata,"",@progbits
; Kernel info:
; codeLenInByte = 2520
; TotalNumSgprs: 43
; NumVgprs: 16
; NumAgprs: 0
; TotalNumVgprs: 16
; ScratchSize: 0
; MemoryBound: 0
; FloatMode: 240
; IeeeMode: 1
; LDSByteSize: 2048 bytes/workgroup (compile time only)
; SGPRBlocks: 5
; VGPRBlocks: 1
; NumSGPRsForWavesPerEU: 43
; NumVGPRsForWavesPerEU: 16
; AccumOffset: 16
; Occupancy: 8
; WaveLimiterHint : 0
; COMPUTE_PGM_RSRC2:SCRATCH_EN: 0
; COMPUTE_PGM_RSRC2:USER_SGPR: 2
; COMPUTE_PGM_RSRC2:TRAP_HANDLER: 0
; COMPUTE_PGM_RSRC2:TGID_X_EN: 1
; COMPUTE_PGM_RSRC2:TGID_Y_EN: 0
; COMPUTE_PGM_RSRC2:TGID_Z_EN: 0
; COMPUTE_PGM_RSRC2:TIDIG_COMP_CNT: 0
; COMPUTE_PGM_RSRC3_GFX90A:ACCUM_OFFSET: 3
; COMPUTE_PGM_RSRC3_GFX90A:TG_SPLIT: 0
	.section	.text._ZN2at6native12_GLOBAL__N_122cdist_kernel_cuda_implIdNS1_5distsIdE3infEEEvPT_PKS6_S9_S6_lllll,"axG",@progbits,_ZN2at6native12_GLOBAL__N_122cdist_kernel_cuda_implIdNS1_5distsIdE3infEEEvPT_PKS6_S9_S6_lllll,comdat
	.globl	_ZN2at6native12_GLOBAL__N_122cdist_kernel_cuda_implIdNS1_5distsIdE3infEEEvPT_PKS6_S9_S6_lllll ; -- Begin function _ZN2at6native12_GLOBAL__N_122cdist_kernel_cuda_implIdNS1_5distsIdE3infEEEvPT_PKS6_S9_S6_lllll
	.p2align	8
	.type	_ZN2at6native12_GLOBAL__N_122cdist_kernel_cuda_implIdNS1_5distsIdE3infEEEvPT_PKS6_S9_S6_lllll,@function
_ZN2at6native12_GLOBAL__N_122cdist_kernel_cuda_implIdNS1_5distsIdE3infEEEvPT_PKS6_S9_S6_lllll: ; @_ZN2at6native12_GLOBAL__N_122cdist_kernel_cuda_implIdNS1_5distsIdE3infEEEvPT_PKS6_S9_S6_lllll
; %bb.0:
	s_load_dwordx8 s[4:11], s[0:1], 0x20
	s_load_dwordx2 s[16:17], s[0:1], 0x40
	s_mov_b32 s3, 0
	s_mov_b32 s12, s3
	s_waitcnt lgkmcnt(0)
	s_mov_b32 s13, s9
	s_cmp_lg_u64 s[12:13], 0
	s_cbranch_scc0 .LBB4_19
; %bb.1:
	s_ashr_i32 s12, s9, 31
	s_add_u32 s14, s8, s12
	s_mov_b32 s13, s12
	s_addc_u32 s15, s9, s12
	s_xor_b64 s[18:19], s[14:15], s[12:13]
	v_cvt_f32_u32_e32 v1, s18
	v_cvt_f32_u32_e32 v2, s19
	s_sub_u32 s22, 0, s18
	s_subb_u32 s23, 0, s19
	v_fmamk_f32 v1, v2, 0x4f800000, v1
	v_rcp_f32_e32 v1, v1
	s_nop 0
	v_mul_f32_e32 v1, 0x5f7ffffc, v1
	v_mul_f32_e32 v2, 0x2f800000, v1
	v_trunc_f32_e32 v2, v2
	v_fmamk_f32 v1, v2, 0xcf800000, v1
	v_cvt_u32_f32_e32 v2, v2
	v_cvt_u32_f32_e32 v1, v1
	v_readfirstlane_b32 s24, v2
	v_readfirstlane_b32 s20, v1
	s_mul_i32 s21, s22, s24
	s_mul_hi_u32 s26, s22, s20
	s_mul_i32 s25, s23, s20
	s_add_i32 s21, s26, s21
	s_add_i32 s21, s21, s25
	s_mul_i32 s27, s22, s20
	s_mul_i32 s26, s20, s21
	s_mul_hi_u32 s28, s20, s27
	s_mul_hi_u32 s25, s20, s21
	s_add_u32 s26, s28, s26
	s_addc_u32 s25, 0, s25
	s_mul_hi_u32 s29, s24, s27
	s_mul_i32 s27, s24, s27
	s_add_u32 s26, s26, s27
	s_mul_hi_u32 s28, s24, s21
	s_addc_u32 s25, s25, s29
	s_addc_u32 s26, s28, 0
	s_mul_i32 s21, s24, s21
	s_add_u32 s21, s25, s21
	s_addc_u32 s25, 0, s26
	s_add_u32 s26, s20, s21
	s_cselect_b64 s[20:21], -1, 0
	s_cmp_lg_u64 s[20:21], 0
	s_addc_u32 s24, s24, s25
	s_mul_i32 s20, s22, s24
	s_mul_hi_u32 s21, s22, s26
	s_add_i32 s20, s21, s20
	s_mul_i32 s23, s23, s26
	s_add_i32 s20, s20, s23
	s_mul_i32 s22, s22, s26
	s_mul_hi_u32 s23, s24, s22
	s_mul_i32 s25, s24, s22
	s_mul_i32 s28, s26, s20
	s_mul_hi_u32 s22, s26, s22
	s_mul_hi_u32 s27, s26, s20
	s_add_u32 s22, s22, s28
	s_addc_u32 s27, 0, s27
	s_add_u32 s22, s22, s25
	s_mul_hi_u32 s21, s24, s20
	s_addc_u32 s22, s27, s23
	s_addc_u32 s21, s21, 0
	s_mul_i32 s20, s24, s20
	s_add_u32 s20, s22, s20
	s_addc_u32 s22, 0, s21
	s_add_u32 s23, s26, s20
	s_cselect_b64 s[20:21], -1, 0
	s_cmp_lg_u64 s[20:21], 0
	s_addc_u32 s22, s24, s22
	s_add_u32 s20, s2, 0
	s_addc_u32 s21, 0, 0
	s_xor_b64 s[20:21], s[20:21], 0
	s_mul_i32 s25, s20, s22
	s_mul_hi_u32 s26, s20, s23
	s_mul_hi_u32 s24, s20, s22
	s_add_u32 s25, s26, s25
	s_addc_u32 s24, 0, s24
	s_mul_hi_u32 s27, s21, s23
	s_mul_i32 s23, s21, s23
	s_add_u32 s23, s25, s23
	s_mul_hi_u32 s26, s21, s22
	s_addc_u32 s23, s24, s27
	s_addc_u32 s24, s26, 0
	s_mul_i32 s22, s21, s22
	s_add_u32 s26, s23, s22
	s_addc_u32 s27, 0, s24
	s_mul_i32 s22, s18, s27
	s_mul_hi_u32 s23, s18, s26
	s_add_i32 s22, s23, s22
	s_mul_i32 s23, s19, s26
	s_add_i32 s28, s22, s23
	s_sub_i32 s24, s21, s28
	s_mul_i32 s22, s18, s26
	s_sub_u32 s20, s20, s22
	s_cselect_b64 s[22:23], -1, 0
	s_cmp_lg_u64 s[22:23], 0
	s_subb_u32 s29, s24, s19
	s_sub_u32 s30, s20, s18
	s_cselect_b64 s[24:25], -1, 0
	s_cmp_lg_u64 s[24:25], 0
	s_subb_u32 s24, s29, 0
	s_cmp_ge_u32 s24, s19
	s_cselect_b32 s25, -1, 0
	s_cmp_ge_u32 s30, s18
	s_cselect_b32 s29, -1, 0
	s_cmp_eq_u32 s24, s19
	s_cselect_b32 s24, s29, s25
	s_add_u32 s25, s26, 1
	s_addc_u32 s29, s27, 0
	s_add_u32 s30, s26, 2
	s_addc_u32 s31, s27, 0
	s_cmp_lg_u32 s24, 0
	s_cselect_b32 s24, s30, s25
	s_cselect_b32 s25, s31, s29
	s_cmp_lg_u64 s[22:23], 0
	s_subb_u32 s21, s21, s28
	s_cmp_ge_u32 s21, s19
	s_cselect_b32 s22, -1, 0
	s_cmp_ge_u32 s20, s18
	s_cselect_b32 s18, -1, 0
	s_cmp_eq_u32 s21, s19
	s_cselect_b32 s18, s18, s22
	s_cmp_lg_u32 s18, 0
	s_cselect_b32 s19, s25, s27
	s_cselect_b32 s18, s24, s26
	s_xor_b64 s[12:13], 0, s[12:13]
	s_xor_b64 s[18:19], s[18:19], s[12:13]
	s_sub_u32 s18, s18, s12
	s_subb_u32 s19, s19, s13
	s_cbranch_execnz .LBB4_3
.LBB4_2:
	v_cvt_f32_u32_e32 v1, s8
	s_sub_i32 s12, 0, s8
	s_mov_b32 s19, 0
	v_rcp_iflag_f32_e32 v1, v1
	s_nop 0
	v_mul_f32_e32 v1, 0x4f7ffffe, v1
	v_cvt_u32_f32_e32 v1, v1
	s_nop 0
	v_readfirstlane_b32 s13, v1
	s_mul_i32 s12, s12, s13
	s_mul_hi_u32 s12, s13, s12
	s_add_i32 s13, s13, s12
	s_mul_hi_u32 s12, s2, s13
	s_mul_i32 s14, s12, s8
	s_sub_i32 s14, s2, s14
	s_add_i32 s13, s12, 1
	s_sub_i32 s15, s14, s8
	s_cmp_ge_u32 s14, s8
	s_cselect_b32 s12, s13, s12
	s_cselect_b32 s14, s15, s14
	s_add_i32 s13, s12, 1
	s_cmp_ge_u32 s14, s8
	s_cselect_b32 s18, s13, s12
.LBB4_3:
	s_mul_i32 s9, s18, s9
	s_mul_hi_u32 s12, s18, s8
	s_add_i32 s9, s12, s9
	s_mul_i32 s12, s19, s8
	s_add_i32 s9, s9, s12
	s_mul_i32 s8, s18, s8
	s_sub_u32 s8, s2, s8
	s_subb_u32 s9, 0, s9
	s_or_b64 s[12:13], s[8:9], s[4:5]
	s_mov_b32 s12, 0
	s_cmp_lg_u64 s[12:13], 0
	s_cbranch_scc0 .LBB4_20
; %bb.4:
	s_ashr_i32 s12, s5, 31
	s_add_u32 s14, s4, s12
	s_mov_b32 s13, s12
	s_addc_u32 s15, s5, s12
	s_xor_b64 s[20:21], s[14:15], s[12:13]
	v_cvt_f32_u32_e32 v1, s20
	v_cvt_f32_u32_e32 v2, s21
	s_sub_u32 s24, 0, s20
	s_subb_u32 s25, 0, s21
	v_fmamk_f32 v1, v2, 0x4f800000, v1
	v_rcp_f32_e32 v1, v1
	s_nop 0
	v_mul_f32_e32 v1, 0x5f7ffffc, v1
	v_mul_f32_e32 v2, 0x2f800000, v1
	v_trunc_f32_e32 v2, v2
	v_fmamk_f32 v1, v2, 0xcf800000, v1
	v_cvt_u32_f32_e32 v2, v2
	v_cvt_u32_f32_e32 v1, v1
	v_readfirstlane_b32 s26, v2
	v_readfirstlane_b32 s22, v1
	s_mul_i32 s23, s24, s26
	s_mul_hi_u32 s28, s24, s22
	s_mul_i32 s27, s25, s22
	s_add_i32 s23, s28, s23
	s_add_i32 s23, s23, s27
	s_mul_i32 s29, s24, s22
	s_mul_i32 s28, s22, s23
	s_mul_hi_u32 s30, s22, s29
	s_mul_hi_u32 s27, s22, s23
	s_add_u32 s28, s30, s28
	s_addc_u32 s27, 0, s27
	s_mul_hi_u32 s31, s26, s29
	s_mul_i32 s29, s26, s29
	s_add_u32 s28, s28, s29
	s_mul_hi_u32 s30, s26, s23
	s_addc_u32 s27, s27, s31
	s_addc_u32 s28, s30, 0
	s_mul_i32 s23, s26, s23
	s_add_u32 s23, s27, s23
	s_addc_u32 s27, 0, s28
	s_add_u32 s28, s22, s23
	s_cselect_b64 s[22:23], -1, 0
	s_cmp_lg_u64 s[22:23], 0
	s_addc_u32 s26, s26, s27
	s_mul_i32 s22, s24, s26
	s_mul_hi_u32 s23, s24, s28
	s_add_i32 s22, s23, s22
	s_mul_i32 s25, s25, s28
	s_add_i32 s22, s22, s25
	s_mul_i32 s24, s24, s28
	s_mul_hi_u32 s25, s26, s24
	s_mul_i32 s27, s26, s24
	s_mul_i32 s30, s28, s22
	s_mul_hi_u32 s24, s28, s24
	s_mul_hi_u32 s29, s28, s22
	s_add_u32 s24, s24, s30
	s_addc_u32 s29, 0, s29
	s_add_u32 s24, s24, s27
	s_mul_hi_u32 s23, s26, s22
	s_addc_u32 s24, s29, s25
	s_addc_u32 s23, s23, 0
	s_mul_i32 s22, s26, s22
	s_add_u32 s22, s24, s22
	s_addc_u32 s24, 0, s23
	s_add_u32 s27, s28, s22
	s_cselect_b64 s[22:23], -1, 0
	s_cmp_lg_u64 s[22:23], 0
	s_addc_u32 s26, s26, s24
	s_ashr_i32 s22, s9, 31
	s_add_u32 s24, s8, s22
	s_mov_b32 s23, s22
	s_addc_u32 s25, s9, s22
	s_xor_b64 s[24:25], s[24:25], s[22:23]
	s_mul_i32 s29, s24, s26
	s_mul_hi_u32 s30, s24, s27
	s_mul_hi_u32 s28, s24, s26
	s_add_u32 s29, s30, s29
	s_addc_u32 s28, 0, s28
	s_mul_hi_u32 s31, s25, s27
	s_mul_i32 s27, s25, s27
	s_add_u32 s27, s29, s27
	s_mul_hi_u32 s30, s25, s26
	s_addc_u32 s27, s28, s31
	s_addc_u32 s28, s30, 0
	s_mul_i32 s26, s25, s26
	s_add_u32 s30, s27, s26
	s_addc_u32 s31, 0, s28
	s_mul_i32 s26, s20, s31
	s_mul_hi_u32 s27, s20, s30
	s_add_i32 s26, s27, s26
	s_mul_i32 s27, s21, s30
	s_add_i32 s33, s26, s27
	s_sub_i32 s28, s25, s33
	s_mul_i32 s26, s20, s30
	s_sub_u32 s24, s24, s26
	s_cselect_b64 s[26:27], -1, 0
	s_cmp_lg_u64 s[26:27], 0
	s_subb_u32 s34, s28, s21
	s_sub_u32 s35, s24, s20
	s_cselect_b64 s[28:29], -1, 0
	s_cmp_lg_u64 s[28:29], 0
	s_subb_u32 s28, s34, 0
	s_cmp_ge_u32 s28, s21
	s_cselect_b32 s29, -1, 0
	s_cmp_ge_u32 s35, s20
	s_cselect_b32 s34, -1, 0
	s_cmp_eq_u32 s28, s21
	s_cselect_b32 s28, s34, s29
	s_add_u32 s29, s30, 1
	s_addc_u32 s34, s31, 0
	s_add_u32 s35, s30, 2
	s_addc_u32 s36, s31, 0
	s_cmp_lg_u32 s28, 0
	s_cselect_b32 s28, s35, s29
	s_cselect_b32 s29, s36, s34
	s_cmp_lg_u64 s[26:27], 0
	s_subb_u32 s25, s25, s33
	s_cmp_ge_u32 s25, s21
	s_cselect_b32 s26, -1, 0
	s_cmp_ge_u32 s24, s20
	s_cselect_b32 s20, -1, 0
	s_cmp_eq_u32 s25, s21
	s_cselect_b32 s20, s20, s26
	s_cmp_lg_u32 s20, 0
	s_cselect_b32 s21, s29, s31
	s_cselect_b32 s20, s28, s30
	s_xor_b64 s[12:13], s[22:23], s[12:13]
	s_xor_b64 s[20:21], s[20:21], s[12:13]
	s_sub_u32 s20, s20, s12
	s_subb_u32 s21, s21, s13
	s_cbranch_execnz .LBB4_6
.LBB4_5:
	v_cvt_f32_u32_e32 v1, s4
	s_sub_i32 s12, 0, s4
	s_mov_b32 s21, 0
	v_rcp_iflag_f32_e32 v1, v1
	s_nop 0
	v_mul_f32_e32 v1, 0x4f7ffffe, v1
	v_cvt_u32_f32_e32 v1, v1
	s_nop 0
	v_readfirstlane_b32 s13, v1
	s_mul_i32 s12, s12, s13
	s_mul_hi_u32 s12, s13, s12
	s_add_i32 s13, s13, s12
	s_mul_hi_u32 s12, s8, s13
	s_mul_i32 s14, s12, s4
	s_sub_i32 s14, s8, s14
	s_add_i32 s13, s12, 1
	s_sub_i32 s15, s14, s4
	s_cmp_ge_u32 s14, s4
	s_cselect_b32 s12, s13, s12
	s_cselect_b32 s14, s15, s14
	s_add_i32 s13, s12, 1
	s_cmp_ge_u32 s14, s4
	s_cselect_b32 s20, s13, s12
.LBB4_6:
	s_load_dwordx4 s[12:15], s[0:1], 0x0
	s_load_dwordx2 s[24:25], s[0:1], 0x10
	s_load_dword s26, s[0:1], 0x54
	v_mov_b32_e32 v1, 0
	v_cmp_gt_i64_e32 vcc, s[6:7], v[0:1]
	v_mov_b64_e32 v[6:7], 0
	s_and_saveexec_b64 s[0:1], vcc
	s_cbranch_execz .LBB4_10
; %bb.7:
	s_mul_i32 s11, s18, s11
	s_mul_hi_u32 s22, s18, s10
	s_add_i32 s11, s22, s11
	s_mul_i32 s22, s19, s10
	s_add_i32 s11, s11, s22
	s_mul_i32 s10, s18, s10
	s_lshl_b64 s[10:11], s[10:11], 3
	s_waitcnt lgkmcnt(0)
	s_add_u32 s14, s14, s10
	s_addc_u32 s15, s15, s11
	s_mul_i32 s10, s20, s7
	s_mul_hi_u32 s11, s20, s6
	s_add_i32 s10, s11, s10
	s_mul_i32 s11, s21, s6
	s_add_i32 s11, s10, s11
	s_mul_i32 s10, s20, s6
	s_lshl_b64 s[10:11], s[10:11], 3
	s_add_u32 s10, s14, s10
	s_addc_u32 s11, s15, s11
	s_lshl_b64 s[14:15], s[6:7], 3
	s_add_u32 s14, s10, s14
	s_mul_i32 s17, s18, s17
	s_mul_hi_u32 s22, s18, s16
	s_addc_u32 s15, s11, s15
	s_add_i32 s17, s22, s17
	s_mul_i32 s19, s19, s16
	s_add_i32 s17, s17, s19
	s_mul_i32 s16, s18, s16
	s_lshl_b64 s[16:17], s[16:17], 3
	s_add_u32 s16, s24, s16
	s_mul_i32 s5, s20, s5
	s_mul_hi_u32 s18, s20, s4
	s_addc_u32 s17, s25, s17
	s_add_i32 s5, s18, s5
	s_mul_i32 s18, s21, s4
	s_add_i32 s5, s5, s18
	s_mul_i32 s4, s20, s4
	s_sub_u32 s4, s8, s4
	s_subb_u32 s5, s9, s5
	s_mul_i32 s7, s4, s7
	s_mul_hi_u32 s8, s4, s6
	s_add_i32 s7, s8, s7
	s_mul_i32 s5, s5, s6
	s_add_i32 s5, s7, s5
	s_mul_i32 s4, s4, s6
	s_lshl_b64 s[4:5], s[4:5], 3
	s_add_u32 s4, s16, s4
	v_lshlrev_b32_e32 v2, 3, v0
	s_mov_b32 s23, 0
	v_mov_b32_e32 v3, v1
	s_addc_u32 s5, s17, s5
	s_and_b32 s8, s26, 0xffff
	v_lshl_add_u64 v[4:5], s[10:11], 0, v[2:3]
	s_lshl_b32 s22, s8, 3
	v_mov_b64_e32 v[6:7], 0
	s_mov_b64 s[6:7], 0
	s_lshl_b32 s8, s8, 3
	s_mov_b32 s9, s23
.LBB4_8:                                ; =>This Inner Loop Header: Depth=1
	v_lshl_add_u64 v[10:11], s[10:11], 0, v[2:3]
	v_lshl_add_u64 v[8:9], s[4:5], 0, v[2:3]
	global_load_dwordx2 v[12:13], v[10:11], off
	global_load_dwordx2 v[14:15], v[8:9], off
	v_lshl_add_u64 v[4:5], v[4:5], 0, s[8:9]
	v_cmp_le_u64_e32 vcc, s[14:15], v[4:5]
	s_or_b64 s[6:7], vcc, s[6:7]
	v_lshl_add_u64 v[2:3], v[2:3], 0, s[22:23]
	s_waitcnt vmcnt(0)
	v_add_f64 v[8:9], v[12:13], -v[14:15]
	v_and_b32_e32 v1, 0x7fffffff, v9
	v_cmp_gt_f64_e64 vcc, |v[8:9]|, v[6:7]
	s_nop 1
	v_cndmask_b32_e32 v7, v7, v1, vcc
	v_cndmask_b32_e32 v6, v6, v8, vcc
	s_andn2_b64 exec, exec, s[6:7]
	s_cbranch_execnz .LBB4_8
; %bb.9:
	s_or_b64 exec, exec, s[6:7]
.LBB4_10:
	s_or_b64 exec, exec, s[0:1]
	v_mbcnt_lo_u32_b32 v1, -1, 0
	v_mbcnt_hi_u32_b32 v11, -1, v1
	v_mov_b32_e32 v1, 0x80
	v_lshl_or_b32 v1, v11, 2, v1
	ds_bpermute_b32 v2, v1, v6
	ds_bpermute_b32 v3, v1, v7
	v_and_b32_e32 v13, 63, v11
	v_and_b32_e32 v12, 63, v0
	s_waitcnt lgkmcnt(0)
	s_barrier
	v_cmp_lt_f64_e32 vcc, v[6:7], v[2:3]
	s_nop 1
	v_cndmask_b32_e32 v3, v7, v3, vcc
	v_cndmask_b32_e32 v2, v6, v2, vcc
	v_cmp_gt_u32_e32 vcc, 48, v13
	s_nop 1
	v_cndmask_b32_e64 v4, 0, 16, vcc
	v_add_lshl_u32 v7, v4, v11, 2
	ds_bpermute_b32 v5, v7, v3
	ds_bpermute_b32 v4, v7, v2
	s_waitcnt lgkmcnt(0)
	v_cmp_lt_f64_e32 vcc, v[2:3], v[4:5]
	s_nop 1
	v_cndmask_b32_e32 v3, v3, v5, vcc
	v_cndmask_b32_e32 v2, v2, v4, vcc
	v_cmp_gt_u32_e32 vcc, 56, v13
	s_nop 1
	v_cndmask_b32_e64 v4, 0, 8, vcc
	v_add_lshl_u32 v8, v4, v11, 2
	ds_bpermute_b32 v4, v8, v2
	ds_bpermute_b32 v5, v8, v3
	s_waitcnt lgkmcnt(0)
	;; [unrolled: 11-line block ×4, first 2 shown]
	v_cmp_lt_f64_e32 vcc, v[2:3], v[4:5]
	s_nop 1
	v_cndmask_b32_e32 v3, v3, v5, vcc
	v_cndmask_b32_e32 v2, v2, v4, vcc
	v_cmp_ne_u32_e32 vcc, 63, v13
	s_nop 1
	v_addc_co_u32_e32 v4, vcc, 0, v11, vcc
	v_lshlrev_b32_e32 v11, 2, v4
	ds_bpermute_b32 v4, v11, v2
	ds_bpermute_b32 v6, v11, v3
	v_cmp_eq_u32_e32 vcc, 0, v12
	s_and_saveexec_b64 s[0:1], vcc
	s_cbranch_execz .LBB4_12
; %bb.11:
	s_waitcnt lgkmcnt(0)
	v_mov_b32_e32 v5, v6
	v_cmp_lt_f64_e32 vcc, v[2:3], v[4:5]
	v_lshrrev_b32_e32 v13, 3, v0
	s_nop 0
	v_cndmask_b32_e32 v3, v3, v6, vcc
	v_cndmask_b32_e32 v2, v2, v4, vcc
	ds_write_b64 v13, v[2:3]
.LBB4_12:
	s_or_b64 exec, exec, s[0:1]
	s_and_b32 s0, 0xffff, s26
	s_lshr_b32 s0, s0, 6
	v_cmp_gt_u32_e32 vcc, s0, v0
	v_mov_b64_e32 v[2:3], 0
	s_waitcnt lgkmcnt(0)
	s_barrier
	s_and_saveexec_b64 s[0:1], vcc
	s_cbranch_execnz .LBB4_16
; %bb.13:
	s_or_b64 exec, exec, s[0:1]
	v_cmp_gt_u32_e32 vcc, 64, v0
	s_and_saveexec_b64 s[0:1], vcc
	s_cbranch_execnz .LBB4_17
.LBB4_14:
	s_or_b64 exec, exec, s[0:1]
	v_cmp_eq_u32_e32 vcc, 0, v0
	s_and_saveexec_b64 s[0:1], vcc
	s_cbranch_execnz .LBB4_18
.LBB4_15:
	s_endpgm
.LBB4_16:
	v_lshlrev_b32_e32 v2, 3, v12
	ds_read_b64 v[2:3], v2
	s_or_b64 exec, exec, s[0:1]
	v_cmp_gt_u32_e32 vcc, 64, v0
	s_and_saveexec_b64 s[0:1], vcc
	s_cbranch_execz .LBB4_14
.LBB4_17:
	s_waitcnt lgkmcnt(0)
	ds_bpermute_b32 v4, v1, v3
	ds_bpermute_b32 v12, v1, v2
	s_waitcnt lgkmcnt(1)
	v_mov_b32_e32 v13, v4
	s_waitcnt lgkmcnt(0)
	v_cmp_lt_f64_e32 vcc, v[2:3], v[12:13]
	s_nop 1
	v_cndmask_b32_e32 v3, v3, v4, vcc
	v_cndmask_b32_e32 v2, v2, v12, vcc
	ds_bpermute_b32 v4, v7, v3
	ds_bpermute_b32 v6, v7, v2
	s_waitcnt lgkmcnt(1)
	v_mov_b32_e32 v7, v4
	s_waitcnt lgkmcnt(0)
	v_cmp_lt_f64_e32 vcc, v[2:3], v[6:7]
	s_nop 1
	v_cndmask_b32_e32 v3, v3, v4, vcc
	v_cndmask_b32_e32 v2, v2, v6, vcc
	;; [unrolled: 9-line block ×6, first 2 shown]
	s_or_b64 exec, exec, s[0:1]
	v_cmp_eq_u32_e32 vcc, 0, v0
	s_and_saveexec_b64 s[0:1], vcc
	s_cbranch_execz .LBB4_15
.LBB4_18:
	s_lshl_b64 s[0:1], s[2:3], 3
	s_add_u32 s0, s12, s0
	s_addc_u32 s1, s13, s1
	v_mov_b32_e32 v0, 0
	s_waitcnt lgkmcnt(0)
	global_store_dwordx2 v0, v[2:3], s[0:1]
	s_endpgm
.LBB4_19:
                                        ; implicit-def: $sgpr18_sgpr19
	s_branch .LBB4_2
.LBB4_20:
                                        ; implicit-def: $sgpr20_sgpr21
	s_branch .LBB4_5
	.section	.rodata,"a",@progbits
	.p2align	6, 0x0
	.amdhsa_kernel _ZN2at6native12_GLOBAL__N_122cdist_kernel_cuda_implIdNS1_5distsIdE3infEEEvPT_PKS6_S9_S6_lllll
		.amdhsa_group_segment_fixed_size 2048
		.amdhsa_private_segment_fixed_size 0
		.amdhsa_kernarg_size 328
		.amdhsa_user_sgpr_count 2
		.amdhsa_user_sgpr_dispatch_ptr 0
		.amdhsa_user_sgpr_queue_ptr 0
		.amdhsa_user_sgpr_kernarg_segment_ptr 1
		.amdhsa_user_sgpr_dispatch_id 0
		.amdhsa_user_sgpr_kernarg_preload_length 0
		.amdhsa_user_sgpr_kernarg_preload_offset 0
		.amdhsa_user_sgpr_private_segment_size 0
		.amdhsa_uses_dynamic_stack 0
		.amdhsa_enable_private_segment 0
		.amdhsa_system_sgpr_workgroup_id_x 1
		.amdhsa_system_sgpr_workgroup_id_y 0
		.amdhsa_system_sgpr_workgroup_id_z 0
		.amdhsa_system_sgpr_workgroup_info 0
		.amdhsa_system_vgpr_workitem_id 0
		.amdhsa_next_free_vgpr 16
		.amdhsa_next_free_sgpr 37
		.amdhsa_accum_offset 16
		.amdhsa_reserve_vcc 1
		.amdhsa_float_round_mode_32 0
		.amdhsa_float_round_mode_16_64 0
		.amdhsa_float_denorm_mode_32 3
		.amdhsa_float_denorm_mode_16_64 3
		.amdhsa_dx10_clamp 1
		.amdhsa_ieee_mode 1
		.amdhsa_fp16_overflow 0
		.amdhsa_tg_split 0
		.amdhsa_exception_fp_ieee_invalid_op 0
		.amdhsa_exception_fp_denorm_src 0
		.amdhsa_exception_fp_ieee_div_zero 0
		.amdhsa_exception_fp_ieee_overflow 0
		.amdhsa_exception_fp_ieee_underflow 0
		.amdhsa_exception_fp_ieee_inexact 0
		.amdhsa_exception_int_div_zero 0
	.end_amdhsa_kernel
	.section	.text._ZN2at6native12_GLOBAL__N_122cdist_kernel_cuda_implIdNS1_5distsIdE3infEEEvPT_PKS6_S9_S6_lllll,"axG",@progbits,_ZN2at6native12_GLOBAL__N_122cdist_kernel_cuda_implIdNS1_5distsIdE3infEEEvPT_PKS6_S9_S6_lllll,comdat
.Lfunc_end4:
	.size	_ZN2at6native12_GLOBAL__N_122cdist_kernel_cuda_implIdNS1_5distsIdE3infEEEvPT_PKS6_S9_S6_lllll, .Lfunc_end4-_ZN2at6native12_GLOBAL__N_122cdist_kernel_cuda_implIdNS1_5distsIdE3infEEEvPT_PKS6_S9_S6_lllll
                                        ; -- End function
	.set _ZN2at6native12_GLOBAL__N_122cdist_kernel_cuda_implIdNS1_5distsIdE3infEEEvPT_PKS6_S9_S6_lllll.num_vgpr, 16
	.set _ZN2at6native12_GLOBAL__N_122cdist_kernel_cuda_implIdNS1_5distsIdE3infEEEvPT_PKS6_S9_S6_lllll.num_agpr, 0
	.set _ZN2at6native12_GLOBAL__N_122cdist_kernel_cuda_implIdNS1_5distsIdE3infEEEvPT_PKS6_S9_S6_lllll.numbered_sgpr, 37
	.set _ZN2at6native12_GLOBAL__N_122cdist_kernel_cuda_implIdNS1_5distsIdE3infEEEvPT_PKS6_S9_S6_lllll.num_named_barrier, 0
	.set _ZN2at6native12_GLOBAL__N_122cdist_kernel_cuda_implIdNS1_5distsIdE3infEEEvPT_PKS6_S9_S6_lllll.private_seg_size, 0
	.set _ZN2at6native12_GLOBAL__N_122cdist_kernel_cuda_implIdNS1_5distsIdE3infEEEvPT_PKS6_S9_S6_lllll.uses_vcc, 1
	.set _ZN2at6native12_GLOBAL__N_122cdist_kernel_cuda_implIdNS1_5distsIdE3infEEEvPT_PKS6_S9_S6_lllll.uses_flat_scratch, 0
	.set _ZN2at6native12_GLOBAL__N_122cdist_kernel_cuda_implIdNS1_5distsIdE3infEEEvPT_PKS6_S9_S6_lllll.has_dyn_sized_stack, 0
	.set _ZN2at6native12_GLOBAL__N_122cdist_kernel_cuda_implIdNS1_5distsIdE3infEEEvPT_PKS6_S9_S6_lllll.has_recursion, 0
	.set _ZN2at6native12_GLOBAL__N_122cdist_kernel_cuda_implIdNS1_5distsIdE3infEEEvPT_PKS6_S9_S6_lllll.has_indirect_call, 0
	.section	.AMDGPU.csdata,"",@progbits
; Kernel info:
; codeLenInByte = 2576
; TotalNumSgprs: 43
; NumVgprs: 16
; NumAgprs: 0
; TotalNumVgprs: 16
; ScratchSize: 0
; MemoryBound: 0
; FloatMode: 240
; IeeeMode: 1
; LDSByteSize: 2048 bytes/workgroup (compile time only)
; SGPRBlocks: 5
; VGPRBlocks: 1
; NumSGPRsForWavesPerEU: 43
; NumVGPRsForWavesPerEU: 16
; AccumOffset: 16
; Occupancy: 8
; WaveLimiterHint : 0
; COMPUTE_PGM_RSRC2:SCRATCH_EN: 0
; COMPUTE_PGM_RSRC2:USER_SGPR: 2
; COMPUTE_PGM_RSRC2:TRAP_HANDLER: 0
; COMPUTE_PGM_RSRC2:TGID_X_EN: 1
; COMPUTE_PGM_RSRC2:TGID_Y_EN: 0
; COMPUTE_PGM_RSRC2:TGID_Z_EN: 0
; COMPUTE_PGM_RSRC2:TIDIG_COMP_CNT: 0
; COMPUTE_PGM_RSRC3_GFX90A:ACCUM_OFFSET: 3
; COMPUTE_PGM_RSRC3_GFX90A:TG_SPLIT: 0
	.section	.text._ZN2at6native12_GLOBAL__N_122cdist_kernel_cuda_implIfNS1_5distsIfE1pEEEvPT_PKS6_S9_S6_lllll,"axG",@progbits,_ZN2at6native12_GLOBAL__N_122cdist_kernel_cuda_implIfNS1_5distsIfE1pEEEvPT_PKS6_S9_S6_lllll,comdat
	.globl	_ZN2at6native12_GLOBAL__N_122cdist_kernel_cuda_implIfNS1_5distsIfE1pEEEvPT_PKS6_S9_S6_lllll ; -- Begin function _ZN2at6native12_GLOBAL__N_122cdist_kernel_cuda_implIfNS1_5distsIfE1pEEEvPT_PKS6_S9_S6_lllll
	.p2align	8
	.type	_ZN2at6native12_GLOBAL__N_122cdist_kernel_cuda_implIfNS1_5distsIfE1pEEEvPT_PKS6_S9_S6_lllll,@function
_ZN2at6native12_GLOBAL__N_122cdist_kernel_cuda_implIfNS1_5distsIfE1pEEEvPT_PKS6_S9_S6_lllll: ; @_ZN2at6native12_GLOBAL__N_122cdist_kernel_cuda_implIfNS1_5distsIfE1pEEEvPT_PKS6_S9_S6_lllll
; %bb.0:
	s_load_dwordx8 s[4:11], s[0:1], 0x20
	s_load_dwordx2 s[18:19], s[0:1], 0x40
	s_mov_b32 s3, 0
	s_mov_b32 s12, s3
	s_waitcnt lgkmcnt(0)
	s_mov_b32 s13, s9
	s_cmp_lg_u64 s[12:13], 0
	s_cbranch_scc0 .LBB5_19
; %bb.1:
	s_ashr_i32 s12, s9, 31
	s_add_u32 s14, s8, s12
	s_mov_b32 s13, s12
	s_addc_u32 s15, s9, s12
	s_xor_b64 s[16:17], s[14:15], s[12:13]
	v_cvt_f32_u32_e32 v1, s16
	v_cvt_f32_u32_e32 v2, s17
	s_sub_u32 s22, 0, s16
	s_subb_u32 s23, 0, s17
	v_fmamk_f32 v1, v2, 0x4f800000, v1
	v_rcp_f32_e32 v1, v1
	s_nop 0
	v_mul_f32_e32 v1, 0x5f7ffffc, v1
	v_mul_f32_e32 v2, 0x2f800000, v1
	v_trunc_f32_e32 v2, v2
	v_fmamk_f32 v1, v2, 0xcf800000, v1
	v_cvt_u32_f32_e32 v2, v2
	v_cvt_u32_f32_e32 v1, v1
	v_readfirstlane_b32 s24, v2
	v_readfirstlane_b32 s20, v1
	s_mul_i32 s21, s22, s24
	s_mul_hi_u32 s26, s22, s20
	s_mul_i32 s25, s23, s20
	s_add_i32 s21, s26, s21
	s_add_i32 s21, s21, s25
	s_mul_i32 s27, s22, s20
	s_mul_i32 s26, s20, s21
	s_mul_hi_u32 s28, s20, s27
	s_mul_hi_u32 s25, s20, s21
	s_add_u32 s26, s28, s26
	s_addc_u32 s25, 0, s25
	s_mul_hi_u32 s29, s24, s27
	s_mul_i32 s27, s24, s27
	s_add_u32 s26, s26, s27
	s_mul_hi_u32 s28, s24, s21
	s_addc_u32 s25, s25, s29
	s_addc_u32 s26, s28, 0
	s_mul_i32 s21, s24, s21
	s_add_u32 s21, s25, s21
	s_addc_u32 s25, 0, s26
	s_add_u32 s26, s20, s21
	s_cselect_b64 s[20:21], -1, 0
	s_cmp_lg_u64 s[20:21], 0
	s_addc_u32 s24, s24, s25
	s_mul_i32 s20, s22, s24
	s_mul_hi_u32 s21, s22, s26
	s_add_i32 s20, s21, s20
	s_mul_i32 s23, s23, s26
	s_add_i32 s20, s20, s23
	s_mul_i32 s22, s22, s26
	s_mul_hi_u32 s23, s24, s22
	s_mul_i32 s25, s24, s22
	s_mul_i32 s28, s26, s20
	s_mul_hi_u32 s22, s26, s22
	s_mul_hi_u32 s27, s26, s20
	s_add_u32 s22, s22, s28
	s_addc_u32 s27, 0, s27
	s_add_u32 s22, s22, s25
	s_mul_hi_u32 s21, s24, s20
	s_addc_u32 s22, s27, s23
	s_addc_u32 s21, s21, 0
	s_mul_i32 s20, s24, s20
	s_add_u32 s20, s22, s20
	s_addc_u32 s22, 0, s21
	s_add_u32 s23, s26, s20
	s_cselect_b64 s[20:21], -1, 0
	s_cmp_lg_u64 s[20:21], 0
	s_addc_u32 s22, s24, s22
	s_add_u32 s20, s2, 0
	s_addc_u32 s21, 0, 0
	s_xor_b64 s[20:21], s[20:21], 0
	s_mul_i32 s25, s20, s22
	s_mul_hi_u32 s26, s20, s23
	s_mul_hi_u32 s24, s20, s22
	s_add_u32 s25, s26, s25
	s_addc_u32 s24, 0, s24
	s_mul_hi_u32 s27, s21, s23
	s_mul_i32 s23, s21, s23
	s_add_u32 s23, s25, s23
	s_mul_hi_u32 s26, s21, s22
	s_addc_u32 s23, s24, s27
	s_addc_u32 s24, s26, 0
	s_mul_i32 s22, s21, s22
	s_add_u32 s26, s23, s22
	s_addc_u32 s27, 0, s24
	s_mul_i32 s22, s16, s27
	s_mul_hi_u32 s23, s16, s26
	s_add_i32 s22, s23, s22
	s_mul_i32 s23, s17, s26
	s_add_i32 s28, s22, s23
	s_sub_i32 s24, s21, s28
	s_mul_i32 s22, s16, s26
	s_sub_u32 s20, s20, s22
	s_cselect_b64 s[22:23], -1, 0
	s_cmp_lg_u64 s[22:23], 0
	s_subb_u32 s29, s24, s17
	s_sub_u32 s30, s20, s16
	s_cselect_b64 s[24:25], -1, 0
	s_cmp_lg_u64 s[24:25], 0
	s_subb_u32 s24, s29, 0
	s_cmp_ge_u32 s24, s17
	s_cselect_b32 s25, -1, 0
	s_cmp_ge_u32 s30, s16
	s_cselect_b32 s29, -1, 0
	s_cmp_eq_u32 s24, s17
	s_cselect_b32 s24, s29, s25
	s_add_u32 s25, s26, 1
	s_addc_u32 s29, s27, 0
	s_add_u32 s30, s26, 2
	s_addc_u32 s31, s27, 0
	s_cmp_lg_u32 s24, 0
	s_cselect_b32 s24, s30, s25
	s_cselect_b32 s25, s31, s29
	s_cmp_lg_u64 s[22:23], 0
	s_subb_u32 s21, s21, s28
	s_cmp_ge_u32 s21, s17
	s_cselect_b32 s22, -1, 0
	s_cmp_ge_u32 s20, s16
	s_cselect_b32 s16, -1, 0
	s_cmp_eq_u32 s21, s17
	s_cselect_b32 s16, s16, s22
	s_cmp_lg_u32 s16, 0
	s_cselect_b32 s17, s25, s27
	s_cselect_b32 s16, s24, s26
	s_xor_b64 s[12:13], 0, s[12:13]
	s_xor_b64 s[16:17], s[16:17], s[12:13]
	s_sub_u32 s24, s16, s12
	s_subb_u32 s25, s17, s13
	s_cbranch_execnz .LBB5_3
.LBB5_2:
	v_cvt_f32_u32_e32 v1, s8
	s_sub_i32 s12, 0, s8
	s_mov_b32 s25, 0
	v_rcp_iflag_f32_e32 v1, v1
	s_nop 0
	v_mul_f32_e32 v1, 0x4f7ffffe, v1
	v_cvt_u32_f32_e32 v1, v1
	s_nop 0
	v_readfirstlane_b32 s13, v1
	s_mul_i32 s12, s12, s13
	s_mul_hi_u32 s12, s13, s12
	s_add_i32 s13, s13, s12
	s_mul_hi_u32 s12, s2, s13
	s_mul_i32 s14, s12, s8
	s_sub_i32 s14, s2, s14
	s_add_i32 s13, s12, 1
	s_sub_i32 s15, s14, s8
	s_cmp_ge_u32 s14, s8
	s_cselect_b32 s12, s13, s12
	s_cselect_b32 s14, s15, s14
	s_add_i32 s13, s12, 1
	s_cmp_ge_u32 s14, s8
	s_cselect_b32 s24, s13, s12
.LBB5_3:
	s_mul_i32 s9, s24, s9
	s_mul_hi_u32 s12, s24, s8
	s_add_i32 s9, s12, s9
	s_mul_i32 s12, s25, s8
	s_add_i32 s9, s9, s12
	s_mul_i32 s8, s24, s8
	s_sub_u32 s8, s2, s8
	s_subb_u32 s9, 0, s9
	s_or_b64 s[12:13], s[8:9], s[4:5]
	s_mov_b32 s12, 0
	s_cmp_lg_u64 s[12:13], 0
	s_cbranch_scc0 .LBB5_20
; %bb.4:
	s_ashr_i32 s12, s5, 31
	s_add_u32 s14, s4, s12
	s_mov_b32 s13, s12
	s_addc_u32 s15, s5, s12
	s_xor_b64 s[16:17], s[14:15], s[12:13]
	v_cvt_f32_u32_e32 v1, s16
	v_cvt_f32_u32_e32 v2, s17
	s_sub_u32 s22, 0, s16
	s_subb_u32 s23, 0, s17
	v_fmamk_f32 v1, v2, 0x4f800000, v1
	v_rcp_f32_e32 v1, v1
	s_nop 0
	v_mul_f32_e32 v1, 0x5f7ffffc, v1
	v_mul_f32_e32 v2, 0x2f800000, v1
	v_trunc_f32_e32 v2, v2
	v_fmamk_f32 v1, v2, 0xcf800000, v1
	v_cvt_u32_f32_e32 v2, v2
	v_cvt_u32_f32_e32 v1, v1
	v_readfirstlane_b32 s26, v2
	v_readfirstlane_b32 s20, v1
	s_mul_i32 s21, s22, s26
	s_mul_hi_u32 s28, s22, s20
	s_mul_i32 s27, s23, s20
	s_add_i32 s21, s28, s21
	s_add_i32 s21, s21, s27
	s_mul_i32 s29, s22, s20
	s_mul_i32 s28, s20, s21
	s_mul_hi_u32 s30, s20, s29
	s_mul_hi_u32 s27, s20, s21
	s_add_u32 s28, s30, s28
	s_addc_u32 s27, 0, s27
	s_mul_hi_u32 s31, s26, s29
	s_mul_i32 s29, s26, s29
	s_add_u32 s28, s28, s29
	s_mul_hi_u32 s30, s26, s21
	s_addc_u32 s27, s27, s31
	s_addc_u32 s28, s30, 0
	s_mul_i32 s21, s26, s21
	s_add_u32 s21, s27, s21
	s_addc_u32 s27, 0, s28
	s_add_u32 s28, s20, s21
	s_cselect_b64 s[20:21], -1, 0
	s_cmp_lg_u64 s[20:21], 0
	s_addc_u32 s26, s26, s27
	s_mul_i32 s20, s22, s26
	s_mul_hi_u32 s21, s22, s28
	s_add_i32 s20, s21, s20
	s_mul_i32 s23, s23, s28
	s_add_i32 s20, s20, s23
	s_mul_i32 s22, s22, s28
	s_mul_hi_u32 s23, s26, s22
	s_mul_i32 s27, s26, s22
	s_mul_i32 s30, s28, s20
	s_mul_hi_u32 s22, s28, s22
	s_mul_hi_u32 s29, s28, s20
	s_add_u32 s22, s22, s30
	s_addc_u32 s29, 0, s29
	s_add_u32 s22, s22, s27
	s_mul_hi_u32 s21, s26, s20
	s_addc_u32 s22, s29, s23
	s_addc_u32 s21, s21, 0
	s_mul_i32 s20, s26, s20
	s_add_u32 s20, s22, s20
	s_addc_u32 s22, 0, s21
	s_add_u32 s27, s28, s20
	s_cselect_b64 s[20:21], -1, 0
	s_cmp_lg_u64 s[20:21], 0
	s_addc_u32 s26, s26, s22
	s_ashr_i32 s20, s9, 31
	s_add_u32 s22, s8, s20
	s_mov_b32 s21, s20
	s_addc_u32 s23, s9, s20
	s_xor_b64 s[22:23], s[22:23], s[20:21]
	s_mul_i32 s29, s22, s26
	s_mul_hi_u32 s30, s22, s27
	s_mul_hi_u32 s28, s22, s26
	s_add_u32 s29, s30, s29
	s_addc_u32 s28, 0, s28
	s_mul_hi_u32 s31, s23, s27
	s_mul_i32 s27, s23, s27
	s_add_u32 s27, s29, s27
	s_mul_hi_u32 s30, s23, s26
	s_addc_u32 s27, s28, s31
	s_addc_u32 s28, s30, 0
	s_mul_i32 s26, s23, s26
	s_add_u32 s30, s27, s26
	s_addc_u32 s31, 0, s28
	s_mul_i32 s26, s16, s31
	s_mul_hi_u32 s27, s16, s30
	s_add_i32 s26, s27, s26
	s_mul_i32 s27, s17, s30
	s_add_i32 s33, s26, s27
	s_sub_i32 s28, s23, s33
	s_mul_i32 s26, s16, s30
	s_sub_u32 s22, s22, s26
	s_cselect_b64 s[26:27], -1, 0
	s_cmp_lg_u64 s[26:27], 0
	s_subb_u32 s34, s28, s17
	s_sub_u32 s35, s22, s16
	s_cselect_b64 s[28:29], -1, 0
	s_cmp_lg_u64 s[28:29], 0
	s_subb_u32 s28, s34, 0
	s_cmp_ge_u32 s28, s17
	s_cselect_b32 s29, -1, 0
	s_cmp_ge_u32 s35, s16
	s_cselect_b32 s34, -1, 0
	s_cmp_eq_u32 s28, s17
	s_cselect_b32 s28, s34, s29
	s_add_u32 s29, s30, 1
	s_addc_u32 s34, s31, 0
	s_add_u32 s35, s30, 2
	s_addc_u32 s36, s31, 0
	s_cmp_lg_u32 s28, 0
	s_cselect_b32 s28, s35, s29
	s_cselect_b32 s29, s36, s34
	s_cmp_lg_u64 s[26:27], 0
	s_subb_u32 s23, s23, s33
	s_cmp_ge_u32 s23, s17
	s_cselect_b32 s26, -1, 0
	s_cmp_ge_u32 s22, s16
	s_cselect_b32 s16, -1, 0
	s_cmp_eq_u32 s23, s17
	s_cselect_b32 s16, s16, s26
	s_cmp_lg_u32 s16, 0
	s_cselect_b32 s17, s29, s31
	s_cselect_b32 s16, s28, s30
	s_xor_b64 s[12:13], s[20:21], s[12:13]
	s_xor_b64 s[16:17], s[16:17], s[12:13]
	s_sub_u32 s26, s16, s12
	s_subb_u32 s27, s17, s13
	s_cbranch_execnz .LBB5_6
.LBB5_5:
	v_cvt_f32_u32_e32 v1, s4
	s_sub_i32 s12, 0, s4
	s_mov_b32 s27, 0
	v_rcp_iflag_f32_e32 v1, v1
	s_nop 0
	v_mul_f32_e32 v1, 0x4f7ffffe, v1
	v_cvt_u32_f32_e32 v1, v1
	s_nop 0
	v_readfirstlane_b32 s13, v1
	s_mul_i32 s12, s12, s13
	s_mul_hi_u32 s12, s13, s12
	s_add_i32 s13, s13, s12
	s_mul_hi_u32 s12, s8, s13
	s_mul_i32 s14, s12, s4
	s_sub_i32 s14, s8, s14
	s_add_i32 s13, s12, 1
	s_sub_i32 s15, s14, s4
	s_cmp_ge_u32 s14, s4
	s_cselect_b32 s12, s13, s12
	s_cselect_b32 s14, s15, s14
	s_add_i32 s13, s12, 1
	s_cmp_ge_u32 s14, s4
	s_cselect_b32 s26, s13, s12
.LBB5_6:
	s_load_dwordx4 s[12:15], s[0:1], 0x0
	s_load_dwordx2 s[28:29], s[0:1], 0x10
	s_load_dword s30, s[0:1], 0x18
	s_load_dword s31, s[0:1], 0x54
	v_mov_b32_e32 v1, 0
	v_cmp_gt_i64_e32 vcc, s[6:7], v[0:1]
	s_and_saveexec_b64 s[16:17], vcc
	s_cbranch_execz .LBB5_10
; %bb.7:
	s_mul_i32 s0, s24, s11
	s_mul_hi_u32 s1, s24, s10
	s_add_i32 s0, s1, s0
	s_mul_i32 s1, s25, s10
	s_add_i32 s1, s0, s1
	s_mul_i32 s0, s24, s10
	s_lshl_b64 s[0:1], s[0:1], 2
	s_waitcnt lgkmcnt(0)
	s_add_u32 s10, s14, s0
	s_addc_u32 s11, s15, s1
	s_mul_i32 s0, s26, s7
	s_mul_hi_u32 s1, s26, s6
	s_add_i32 s0, s1, s0
	s_mul_i32 s1, s27, s6
	s_add_i32 s1, s0, s1
	s_mul_i32 s0, s26, s6
	s_lshl_b64 s[0:1], s[0:1], 2
	s_add_u32 s14, s10, s0
	s_addc_u32 s15, s11, s1
	s_lshl_b64 s[0:1], s[6:7], 2
	s_add_u32 s20, s14, s0
	s_addc_u32 s21, s15, s1
	s_mul_i32 s0, s24, s19
	s_mul_hi_u32 s1, s24, s18
	s_add_i32 s0, s1, s0
	s_mul_i32 s1, s25, s18
	s_add_i32 s1, s0, s1
	s_mul_i32 s0, s24, s18
	s_lshl_b64 s[0:1], s[0:1], 2
	s_add_u32 s10, s28, s0
	s_addc_u32 s11, s29, s1
	s_mul_i32 s0, s26, s5
	s_mul_hi_u32 s1, s26, s4
	s_add_i32 s0, s1, s0
	s_mul_i32 s1, s27, s4
	s_add_i32 s0, s0, s1
	s_mul_i32 s1, s26, s4
	s_sub_u32 s4, s8, s1
	s_subb_u32 s0, s9, s0
	s_mul_i32 s1, s4, s7
	s_mul_hi_u32 s5, s4, s6
	s_add_i32 s1, s5, s1
	s_mul_i32 s0, s0, s6
	s_add_i32 s1, s1, s0
	s_mul_i32 s0, s4, s6
	s_lshl_b64 s[0:1], s[0:1], 2
	s_add_u32 s18, s10, s0
	v_lshlrev_b32_e32 v2, 2, v0
	s_mov_b32 s23, 0
	v_mov_b32_e32 v3, 0
	s_addc_u32 s19, s11, s1
	s_and_b32 s0, s31, 0xffff
                                        ; implicit-def: $vgpr1
	v_lshl_add_u64 v[4:5], s[14:15], 0, v[2:3]
	s_lshl_b32 s22, s0, 2
	s_mov_b64 s[24:25], 0
	v_mov_b32_e32 v6, s30
	s_mov_b32 s28, 0x3f2aaaab
	v_mov_b32_e32 v7, 0x3e91f4c4
	s_mov_b32 s29, 0x3f317218
	s_movk_i32 s33, 0x204
	s_mov_b32 s34, 0x7f800000
	s_mov_b32 s35, 0x42b17218
	v_mov_b32_e32 v8, 0x37000000
	s_mov_b32 s36, 0x3fb8aa3b
	s_mov_b32 s37, 0xc2ce8ed0
	v_mov_b32_e32 v9, 0x7f800000
	v_mov_b32_e32 v10, 0x7fc00000
	s_lshl_b32 s26, s0, 2
	s_mov_b32 s27, s23
	v_mov_b32_e32 v1, v3
.LBB5_8:                                ; =>This Inner Loop Header: Depth=1
	v_lshl_add_u64 v[14:15], s[14:15], 0, v[2:3]
	v_lshl_add_u64 v[12:13], s[18:19], 0, v[2:3]
	global_load_dword v11, v[14:15], off
	global_load_dword v16, v[12:13], off
	v_lshl_add_u64 v[4:5], v[4:5], 0, s[26:27]
	v_cmp_le_u64_e32 vcc, s[20:21], v[4:5]
	v_lshl_add_u64 v[2:3], v[2:3], 0, s[22:23]
	s_waitcnt vmcnt(0)
	v_sub_f32_e32 v11, v11, v16
	v_cmp_neq_f32_e64 s[0:1], |v11|, 1.0
	s_nop 1
	v_cndmask_b32_e64 v26, 1.0, v6, s[0:1]
	v_cmp_neq_f32_e64 s[0:1], 0, v26
	v_cmp_gt_f32_e64 s[6:7], 0, v26
	v_cmp_neq_f32_e64 s[38:39], v26, |v26|
	v_cndmask_b32_e64 v11, 1.0, |v11|, s[0:1]
	v_frexp_mant_f32_e32 v14, v11
	v_cmp_gt_f32_e64 s[10:11], s28, v14
	v_cvt_f64_f32_e32 v[12:13], v11
	v_cmp_eq_f32_e64 s[4:5], 0, v11
	v_cndmask_b32_e64 v15, 1.0, 2.0, s[10:11]
	v_mul_f32_e32 v14, v14, v15
	v_add_f32_e32 v15, 1.0, v14
	v_cmp_gt_f32_e64 s[8:9], 1.0, v11
	v_frexp_exp_i32_f64_e32 v12, v[12:13]
	s_xor_b64 s[6:7], s[6:7], s[4:5]
	v_rcp_f32_e32 v17, v15
	s_xor_b64 s[8:9], s[38:39], s[8:9]
	v_cndmask_b32_e64 v27, v9, 0, s[6:7]
	v_subbrev_co_u32_e64 v12, s[6:7], 0, v12, s[10:11]
	v_cndmask_b32_e64 v13, v9, 0, s[8:9]
	v_cmp_neq_f32_e64 s[8:9], 1.0, v11
	v_cvt_f32_i32_e32 v12, v12
	v_add_f32_e32 v16, -1.0, v15
	v_cndmask_b32_e64 v28, 1.0, v13, s[8:9]
	v_add_f32_e32 v13, -1.0, v14
	v_mul_f32_e32 v22, v13, v17
	v_mul_f32_e32 v18, v15, v22
	v_sub_f32_e32 v19, v14, v16
	v_mul_f32_e32 v14, 0x3f317218, v12
	v_fma_f32 v20, v22, v15, -v18
	v_fma_f32 v16, v12, s29, -v14
	v_fmac_f32_e32 v20, v22, v19
	v_fmac_f32_e32 v16, 0xb102e308, v12
	v_add_f32_e32 v12, v18, v20
	v_sub_f32_e32 v19, v13, v12
	v_mov_b32_e32 v21, v12
	v_pk_add_f32 v[12:13], v[12:13], v[18:19] neg_lo:[0,1] neg_hi:[0,1]
	v_cmp_eq_f32_e64 s[0:1], s34, v11
	v_pk_add_f32 v[12:13], v[12:13], v[20:21] neg_lo:[0,1] neg_hi:[0,1]
	s_or_b64 s[0:1], s[4:5], s[0:1]
	v_add_f32_e32 v12, v12, v13
	v_add_f32_e32 v12, v19, v12
	v_mul_f32_e32 v13, v17, v12
	v_add_f32_e32 v12, v22, v13
	v_sub_f32_e32 v15, v12, v22
	v_mul_f32_e32 v19, v12, v12
	v_sub_f32_e32 v15, v13, v15
	v_fma_f32 v13, v12, v12, -v19
	v_add_f32_e32 v18, v15, v15
	v_fmac_f32_e32 v13, v12, v18
	v_add_f32_e32 v18, v19, v13
	v_fmamk_f32 v20, v18, 0x3e76c4e1, v7
	v_sub_f32_e32 v19, v18, v19
	v_fmaak_f32 v20, v18, v20, 0x3ecccdef
	v_sub_f32_e32 v30, v13, v19
	v_mul_f32_e32 v13, v18, v20
	v_fma_f32 v19, v18, v20, -v13
	v_fmac_f32_e32 v19, v30, v20
	v_add_f32_e32 v20, v13, v19
	v_add_f32_e32 v21, 0x3f2aaaaa, v20
	v_sub_f32_e32 v13, v20, v13
	v_sub_f32_e32 v13, v19, v13
	v_add_f32_e32 v19, 0xbf2aaaaa, v21
	v_add_f32_e32 v13, 0x31739010, v13
	v_sub_f32_e32 v19, v20, v19
	v_pk_mul_f32 v[22:23], v[12:13], v[18:19]
	v_pk_add_f32 v[24:25], v[12:13], v[18:19]
	v_fma_f32 v20, v18, v12, -v22
	v_fmac_f32_e32 v20, v18, v15
	v_mov_b32_e32 v23, v25
	v_fmac_f32_e32 v20, v30, v12
	v_ldexp_f32 v17, v12, 1
	v_pk_add_f32 v[12:13], v[22:23], v[20:21]
	v_ldexp_f32 v29, v15, 1
	v_sub_f32_e32 v15, v12, v22
	v_sub_f32_e32 v21, v21, v13
	v_pk_mul_f32 v[18:19], v[12:13], v[12:13] op_sel:[0,1] op_sel_hi:[1,0]
	v_sub_f32_e32 v15, v20, v15
	v_add_f32_e32 v21, v25, v21
	v_fma_f32 v20, v12, v13, -v18
	v_fmac_f32_e32 v20, v12, v21
	v_fmac_f32_e32 v20, v15, v13
	v_add_f32_e32 v15, v18, v20
	v_pk_add_f32 v[12:13], v[14:15], v[16:17]
	v_mov_b32_e32 v19, v17
	v_mov_b32_e32 v22, v15
	v_mov_b32_e32 v23, v13
	v_mov_b32_e32 v21, v15
	v_pk_add_f32 v[18:19], v[22:23], v[18:19] neg_lo:[0,1] neg_hi:[0,1]
	v_mov_b32_e32 v17, v12
	v_pk_add_f32 v[18:19], v[20:21], v[18:19] neg_lo:[0,1] neg_hi:[0,1]
	v_mov_b32_e32 v25, v12
	v_add_f32_e32 v15, v29, v18
	v_add_f32_e32 v15, v15, v19
	v_pk_add_f32 v[18:19], v[12:13], v[14:15] neg_lo:[0,1] neg_hi:[0,1]
	v_pk_add_f32 v[20:21], v[12:13], v[14:15]
	v_mov_b32_e32 v24, v15
	v_mov_b32_e32 v19, v21
	v_pk_add_f32 v[22:23], v[16:17], v[18:19] neg_lo:[0,1] neg_hi:[0,1]
	v_pk_add_f32 v[16:17], v[16:17], v[18:19]
	v_mov_b32_e32 v14, v21
	v_pk_add_f32 v[18:19], v[16:17], v[12:13] op_sel:[1,0] op_sel_hi:[0,1] neg_lo:[0,1] neg_hi:[0,1]
	v_mov_b32_e32 v15, v17
	v_pk_mov_b32 v[12:13], v[12:13], v[18:19] op_sel:[1,0]
	v_pk_add_f32 v[20:21], v[20:21], v[18:19] op_sel_hi:[1,0] neg_lo:[0,1] neg_hi:[0,1]
	v_pk_add_f32 v[12:13], v[14:15], v[12:13] neg_lo:[0,1] neg_hi:[0,1]
	v_mov_b32_e32 v20, v22
	v_pk_add_f32 v[12:13], v[24:25], v[12:13] neg_lo:[0,1] neg_hi:[0,1]
	v_mov_b32_e32 v23, v17
	v_pk_add_f32 v[14:15], v[20:21], v[12:13]
	s_or_b64 s[24:25], vcc, s[24:25]
	v_pk_add_f32 v[18:19], v[14:15], v[14:15] op_sel:[0,1] op_sel_hi:[1,0]
	v_cmp_o_f32_e32 vcc, v11, v26
	v_pk_add_f32 v[16:17], v[16:17], v[18:19] op_sel:[1,0] op_sel_hi:[0,1]
	v_mov_b32_e32 v15, v16
	v_mov_b32_e32 v13, v18
	v_pk_add_f32 v[18:19], v[14:15], v[22:23] neg_lo:[0,1] neg_hi:[0,1]
	s_nop 0
	v_sub_f32_e32 v14, v14, v18
	v_pk_add_f32 v[12:13], v[12:13], v[18:19] neg_lo:[0,1] neg_hi:[0,1]
	v_sub_f32_e32 v14, v22, v14
	v_add_f32_e32 v12, v12, v14
	v_add_f32_e32 v12, v12, v13
	;; [unrolled: 1-line block ×3, first 2 shown]
	v_sub_f32_e32 v14, v13, v16
	v_mul_f32_e32 v15, v26, v13
	v_sub_f32_e32 v12, v12, v14
	v_fma_f32 v13, v26, v13, -v15
	v_fmac_f32_e32 v13, v26, v12
	v_add_f32_e32 v12, v15, v13
	v_cmp_class_f32_e64 s[6:7], v15, s33
	v_sub_f32_e32 v14, v12, v15
	v_sub_f32_e32 v13, v13, v14
	v_cndmask_b32_e64 v12, v12, v15, s[6:7]
	v_cmp_eq_f32_e64 s[6:7], s35, v12
	s_nop 1
	v_cndmask_b32_e64 v14, 0, v8, s[6:7]
	v_cmp_neq_f32_e64 s[6:7], |v12|, s34
	v_sub_f32_e32 v12, v12, v14
	s_nop 0
	v_cndmask_b32_e64 v13, 0, v13, s[6:7]
	v_add_f32_e32 v13, v14, v13
	v_mul_f32_e32 v14, 0x3fb8aa3b, v12
	v_fma_f32 v15, v12, s36, -v14
	v_rndne_f32_e32 v16, v14
	v_fmac_f32_e32 v15, 0x32a5705f, v12
	v_sub_f32_e32 v14, v14, v16
	v_add_f32_e32 v14, v14, v15
	v_cvt_i32_f32_e32 v16, v16
	v_exp_f32_e32 v14, v14
	v_cmp_ngt_f32_e64 s[6:7], s37, v12
	v_ldexp_f32 v14, v14, v16
	s_nop 0
	v_cndmask_b32_e64 v14, 0, v14, s[6:7]
	v_cmp_nlt_f32_e64 s[6:7], s35, v12
	s_nop 1
	v_cndmask_b32_e64 v12, v9, v14, s[6:7]
	v_fma_f32 v13, v12, v13, v12
	v_cmp_class_f32_e64 s[6:7], v12, s33
	s_nop 1
	v_cndmask_b32_e64 v12, v13, v12, s[6:7]
	v_cmp_class_f32_e64 s[6:7], v26, s33
	s_nop 1
	v_cndmask_b32_e64 v12, |v12|, v28, s[6:7]
	v_cndmask_b32_e64 v12, v12, v27, s[0:1]
	v_cndmask_b32_e32 v11, v10, v12, vcc
	v_add_f32_e32 v1, v1, v11
	s_andn2_b64 exec, exec, s[24:25]
	s_cbranch_execnz .LBB5_8
; %bb.9:
	s_or_b64 exec, exec, s[24:25]
.LBB5_10:
	s_or_b64 exec, exec, s[16:17]
	v_mbcnt_lo_u32_b32 v2, -1, 0
	v_mbcnt_hi_u32_b32 v6, -1, v2
	v_mov_b32_e32 v2, 0x80
	v_lshl_or_b32 v2, v6, 2, v2
	ds_bpermute_b32 v3, v2, v1
	v_and_b32_e32 v7, 63, v6
	v_cmp_gt_u32_e32 vcc, 48, v7
	s_waitcnt lgkmcnt(0)
	s_barrier
	v_cndmask_b32_e64 v4, 0, 16, vcc
	v_add_f32_e32 v5, v1, v3
	v_add_lshl_u32 v1, v4, v6, 2
	ds_bpermute_b32 v4, v1, v5
	v_cmp_gt_u32_e32 vcc, 56, v7
	s_waitcnt lgkmcnt(0)
	v_add_f32_e32 v5, v5, v4
	v_cndmask_b32_e64 v3, 0, 8, vcc
	v_add_lshl_u32 v3, v3, v6, 2
	ds_bpermute_b32 v8, v3, v5
	v_cmp_gt_u32_e32 vcc, 60, v7
	s_waitcnt lgkmcnt(0)
	v_add_f32_e32 v8, v5, v8
	v_cndmask_b32_e64 v4, 0, 4, vcc
	v_add_lshl_u32 v4, v4, v6, 2
	ds_bpermute_b32 v9, v4, v8
	v_cmp_gt_u32_e32 vcc, 62, v7
	s_waitcnt lgkmcnt(0)
	v_add_f32_e32 v9, v8, v9
	v_cndmask_b32_e64 v5, 0, 2, vcc
	v_add_lshl_u32 v5, v5, v6, 2
	ds_bpermute_b32 v10, v5, v9
	v_cmp_ne_u32_e32 vcc, 63, v7
	v_and_b32_e32 v8, 63, v0
	s_waitcnt lgkmcnt(0)
	v_add_f32_e32 v7, v9, v10
	v_addc_co_u32_e32 v6, vcc, 0, v6, vcc
	v_lshlrev_b32_e32 v6, 2, v6
	ds_bpermute_b32 v9, v6, v7
	v_cmp_eq_u32_e32 vcc, 0, v8
	s_and_saveexec_b64 s[0:1], vcc
	s_cbranch_execz .LBB5_12
; %bb.11:
	s_waitcnt lgkmcnt(0)
	v_add_f32_e32 v7, v7, v9
	v_lshrrev_b32_e32 v9, 4, v0
	ds_write_b32 v9, v7
.LBB5_12:
	s_or_b64 exec, exec, s[0:1]
	s_and_b32 s0, 0xffff, s31
	s_lshr_b32 s0, s0, 6
	v_cmp_gt_u32_e32 vcc, s0, v0
	v_mov_b32_e32 v7, 0
	s_waitcnt lgkmcnt(0)
	s_barrier
	s_and_saveexec_b64 s[0:1], vcc
	s_cbranch_execnz .LBB5_16
; %bb.13:
	s_or_b64 exec, exec, s[0:1]
	v_cmp_gt_u32_e32 vcc, 64, v0
	s_and_saveexec_b64 s[0:1], vcc
	s_cbranch_execnz .LBB5_17
.LBB5_14:
	s_or_b64 exec, exec, s[0:1]
	v_cmp_eq_u32_e32 vcc, 0, v0
	s_and_saveexec_b64 s[0:1], vcc
	s_cbranch_execnz .LBB5_18
.LBB5_15:
	s_endpgm
.LBB5_16:
	v_lshlrev_b32_e32 v7, 2, v8
	ds_read_b32 v7, v7
	s_or_b64 exec, exec, s[0:1]
	v_cmp_gt_u32_e32 vcc, 64, v0
	s_and_saveexec_b64 s[0:1], vcc
	s_cbranch_execz .LBB5_14
.LBB5_17:
	s_waitcnt lgkmcnt(0)
	ds_bpermute_b32 v2, v2, v7
	s_waitcnt lgkmcnt(0)
	v_add_f32_e32 v2, v7, v2
	ds_bpermute_b32 v1, v1, v2
	s_waitcnt lgkmcnt(0)
	v_add_f32_e32 v1, v2, v1
	;; [unrolled: 3-line block ×6, first 2 shown]
	s_or_b64 exec, exec, s[0:1]
	v_cmp_eq_u32_e32 vcc, 0, v0
	s_and_saveexec_b64 s[0:1], vcc
	s_cbranch_execz .LBB5_15
.LBB5_18:
	v_div_scale_f32 v0, s[0:1], s30, s30, 1.0
	v_rcp_f32_e32 v1, v0
	v_div_scale_f32 v2, vcc, 1.0, s30, 1.0
	s_mov_b32 s0, 0x3f2aaaab
	v_fma_f32 v3, -v0, v1, 1.0
	v_fmac_f32_e32 v1, v3, v1
	v_mul_f32_e32 v3, v2, v1
	v_fma_f32 v4, -v0, v3, v2
	v_fmac_f32_e32 v3, v4, v1
	v_fma_f32 v0, -v0, v3, v2
	v_div_fmas_f32 v0, v0, v1, v3
	v_div_fixup_f32 v0, v0, s30, 1.0
	s_waitcnt lgkmcnt(0)
	v_cmp_neq_f32_e32 vcc, 1.0, v7
	s_movk_i32 s8, 0x204
	s_mov_b32 s1, 0x42b17218
	v_cndmask_b32_e32 v14, 1.0, v0, vcc
	v_cmp_neq_f32_e32 vcc, 0, v14
	s_mov_b32 s4, 0x3fb8aa3b
	s_brev_b32 s9, -2
	v_cndmask_b32_e32 v15, 1.0, v7, vcc
	v_frexp_mant_f32_e64 v0, |v15|
	v_cmp_gt_f32_e32 vcc, s0, v0
	s_mov_b32 s0, 0x3f317218
	v_cmp_lt_f32_e64 s[6:7], |v15|, 1.0
	v_cndmask_b32_e64 v1, 1.0, 2.0, vcc
	v_mul_f32_e32 v0, v0, v1
	v_add_f32_e32 v3, 1.0, v0
	v_rcp_f32_e32 v8, v3
	v_add_f32_e32 v1, -1.0, v3
	v_sub_f32_e32 v5, v0, v1
	v_add_f32_e32 v1, -1.0, v0
	v_mul_f32_e32 v9, v1, v8
	v_mul_f32_e32 v2, v3, v9
	v_fma_f32 v4, v9, v3, -v2
	v_fmac_f32_e32 v4, v9, v5
	v_add_f32_e32 v0, v2, v4
	v_sub_f32_e32 v3, v1, v0
	v_pk_add_f32 v[6:7], v[0:1], v[2:3] neg_lo:[0,1] neg_hi:[0,1]
	v_mov_b32_e32 v5, v0
	v_pk_add_f32 v[0:1], v[6:7], v[4:5] neg_lo:[0,1] neg_hi:[0,1]
	v_mov_b32_e32 v4, 0x3e91f4c4
	v_add_f32_e32 v0, v0, v1
	v_add_f32_e32 v0, v3, v0
	v_mul_f32_e32 v1, v8, v0
	v_add_f32_e32 v0, v9, v1
	v_sub_f32_e32 v2, v0, v9
	v_sub_f32_e32 v10, v1, v2
	v_mul_f32_e32 v1, v0, v0
	v_fma_f32 v3, v0, v0, -v1
	v_add_f32_e32 v2, v10, v10
	v_fmac_f32_e32 v3, v0, v2
	v_add_f32_e32 v2, v1, v3
	v_fmac_f32_e32 v4, 0x3e76c4e1, v2
	v_fmaak_f32 v4, v2, v4, 0x3ecccdef
	v_sub_f32_e32 v1, v2, v1
	v_sub_f32_e32 v11, v3, v1
	v_mul_f32_e32 v1, v2, v4
	v_fma_f32 v3, v2, v4, -v1
	v_fmac_f32_e32 v3, v11, v4
	v_add_f32_e32 v4, v1, v3
	v_add_f32_e32 v5, 0x3f2aaaaa, v4
	v_sub_f32_e32 v1, v4, v1
	v_sub_f32_e32 v1, v3, v1
	v_add_f32_e32 v3, 0xbf2aaaaa, v5
	v_add_f32_e32 v1, 0x31739010, v1
	v_sub_f32_e32 v3, v4, v3
	v_pk_mul_f32 v[6:7], v[0:1], v[2:3]
	v_pk_add_f32 v[8:9], v[0:1], v[2:3]
	v_fma_f32 v4, v2, v0, -v6
	v_fmac_f32_e32 v4, v2, v10
	v_mov_b32_e32 v7, v9
	v_fmac_f32_e32 v4, v11, v0
	v_pk_add_f32 v[2:3], v[6:7], v[4:5]
	v_ldexp_f32 v12, v10, 1
	v_sub_f32_e32 v1, v2, v6
	v_sub_f32_e32 v1, v4, v1
	;; [unrolled: 1-line block ×3, first 2 shown]
	v_add_f32_e32 v7, v9, v4
	v_pk_mul_f32 v[4:5], v[2:3], v[2:3] op_sel:[0,1] op_sel_hi:[1,0]
	v_cvt_f64_f32_e64 v[8:9], |v15|
	v_frexp_exp_i32_f64_e32 v5, v[8:9]
	v_subbrev_co_u32_e32 v5, vcc, 0, v5, vcc
	v_cvt_f32_i32_e32 v5, v5
	v_fma_f32 v6, v2, v3, -v4
	v_fmac_f32_e32 v6, v2, v7
	v_fmac_f32_e32 v6, v1, v3
	v_mul_f32_e32 v2, 0x3f317218, v5
	v_fma_f32 v1, v5, s0, -v2
	v_fmamk_f32 v8, v5, 0xb102e308, v1
	v_ldexp_f32 v9, v0, 1
	v_add_f32_e32 v3, v4, v6
	v_pk_add_f32 v[0:1], v[2:3], v[8:9]
	v_mov_b32_e32 v10, v3
	v_mov_b32_e32 v11, v1
	;; [unrolled: 1-line block ×3, first 2 shown]
	v_pk_add_f32 v[4:5], v[10:11], v[4:5] neg_lo:[0,1] neg_hi:[0,1]
	v_mov_b32_e32 v7, v3
	v_pk_add_f32 v[4:5], v[6:7], v[4:5] neg_lo:[0,1] neg_hi:[0,1]
	v_mov_b32_e32 v9, v0
	v_add_f32_e32 v3, v12, v4
	v_add_f32_e32 v3, v3, v5
	v_pk_add_f32 v[4:5], v[0:1], v[2:3] neg_lo:[0,1] neg_hi:[0,1]
	v_pk_add_f32 v[6:7], v[0:1], v[2:3]
	v_mov_b32_e32 v2, v3
	v_mov_b32_e32 v5, v7
	v_pk_add_f32 v[10:11], v[8:9], v[4:5] neg_lo:[0,1] neg_hi:[0,1]
	v_pk_add_f32 v[4:5], v[8:9], v[4:5]
	v_mov_b32_e32 v3, v0
	v_pk_add_f32 v[8:9], v[4:5], v[0:1] op_sel:[1,0] op_sel_hi:[0,1] neg_lo:[0,1] neg_hi:[0,1]
	v_pk_add_f32 v[12:13], v[6:7], v[8:9] op_sel_hi:[1,0] neg_lo:[0,1] neg_hi:[0,1]
	v_mov_b32_e32 v6, v7
	v_mov_b32_e32 v7, v5
	v_pk_mov_b32 v[8:9], v[0:1], v[8:9] op_sel:[1,0]
	v_mov_b32_e32 v12, v10
	v_pk_add_f32 v[6:7], v[6:7], v[8:9] neg_lo:[0,1] neg_hi:[0,1]
	v_mov_b32_e32 v11, v5
	v_pk_add_f32 v[0:1], v[2:3], v[6:7] neg_lo:[0,1] neg_hi:[0,1]
	s_mov_b32 s0, 0x7f800000
	v_pk_add_f32 v[2:3], v[12:13], v[0:1]
	s_nop 0
	v_pk_add_f32 v[6:7], v[2:3], v[2:3] op_sel:[0,1] op_sel_hi:[1,0]
	s_nop 0
	v_pk_add_f32 v[4:5], v[4:5], v[6:7] op_sel:[1,0] op_sel_hi:[0,1]
	v_mov_b32_e32 v3, v4
	v_pk_add_f32 v[8:9], v[2:3], v[10:11] neg_lo:[0,1] neg_hi:[0,1]
	v_mov_b32_e32 v1, v6
	v_sub_f32_e32 v2, v2, v8
	v_pk_add_f32 v[0:1], v[0:1], v[8:9] neg_lo:[0,1] neg_hi:[0,1]
	v_sub_f32_e32 v2, v10, v2
	v_add_f32_e32 v0, v0, v2
	v_add_f32_e32 v0, v0, v1
	;; [unrolled: 1-line block ×3, first 2 shown]
	v_sub_f32_e32 v2, v1, v4
	v_sub_f32_e32 v0, v0, v2
	v_mul_f32_e32 v2, v14, v1
	v_fma_f32 v1, v14, v1, -v2
	v_fmac_f32_e32 v1, v14, v0
	v_add_f32_e32 v0, v2, v1
	v_cmp_class_f32_e64 vcc, v2, s8
	v_sub_f32_e32 v3, v0, v2
	v_sub_f32_e32 v1, v1, v3
	v_cndmask_b32_e32 v0, v0, v2, vcc
	v_mov_b32_e32 v2, 0x37000000
	v_cmp_eq_f32_e32 vcc, s1, v0
	s_nop 1
	v_cndmask_b32_e32 v2, 0, v2, vcc
	v_sub_f32_e32 v3, v0, v2
	v_mul_f32_e32 v4, 0x3fb8aa3b, v3
	v_fma_f32 v5, v3, s4, -v4
	v_rndne_f32_e32 v6, v4
	v_fmamk_f32 v5, v3, 0x32a5705f, v5
	v_sub_f32_e32 v4, v4, v6
	v_add_f32_e32 v4, v4, v5
	v_exp_f32_e32 v4, v4
	v_cvt_i32_f32_e32 v5, v6
	v_cmp_neq_f32_e64 vcc, |v0|, s0
	s_mov_b32 s0, 0xc2ce8ed0
	v_cmp_neq_f32_e64 s[4:5], v14, |v14|
	v_cndmask_b32_e32 v0, 0, v1, vcc
	v_ldexp_f32 v1, v4, v5
	v_cmp_ngt_f32_e32 vcc, s0, v3
	v_add_f32_e32 v0, v2, v0
	v_mov_b32_e32 v2, 0x7f800000
	v_cndmask_b32_e32 v1, 0, v1, vcc
	v_cmp_nlt_f32_e32 vcc, s1, v3
	v_mov_b32_e32 v3, 0x7fc00000
	s_xor_b64 s[4:5], s[4:5], s[6:7]
	v_cndmask_b32_e32 v1, v2, v1, vcc
	v_fma_f32 v0, v1, v0, v1
	v_cmp_class_f32_e64 vcc, v1, s8
	v_cmp_class_f32_e64 s[6:7], v15, s8
	s_nop 0
	v_cndmask_b32_e32 v0, v0, v1, vcc
	v_trunc_f32_e32 v1, v14
	v_cmp_eq_f32_e32 vcc, v1, v14
	v_mul_f32_e32 v1, 0.5, v14
	v_trunc_f32_e32 v4, v1
	v_cmp_neq_f32_e64 s[0:1], v4, v1
	s_and_b64 s[0:1], vcc, s[0:1]
	s_nop 0
	v_cndmask_b32_e64 v1, 1.0, v15, s[0:1]
	v_bfi_b32 v0, s9, v0, v1
	v_cndmask_b32_e32 v1, v3, v0, vcc
	v_cmp_gt_f32_e32 vcc, 0, v15
	s_nop 1
	v_cndmask_b32_e32 v0, v0, v1, vcc
	v_cndmask_b32_e64 v1, v2, 0, s[4:5]
	v_cmp_neq_f32_e64 vcc, |v15|, 1.0
	v_cmp_gt_f32_e64 s[4:5], 0, v14
	s_nop 0
	v_cndmask_b32_e32 v1, 1.0, v1, vcc
	v_cmp_class_f32_e64 vcc, v14, s8
	s_nop 1
	v_cndmask_b32_e32 v0, v0, v1, vcc
	v_cmp_eq_f32_e32 vcc, 0, v15
	s_xor_b64 s[4:5], s[4:5], vcc
	v_cndmask_b32_e64 v1, v2, 0, s[4:5]
	v_cndmask_b32_e64 v2, 0, v15, s[0:1]
	v_bfi_b32 v1, s9, v1, v2
	s_or_b64 vcc, vcc, s[6:7]
	s_lshl_b64 s[0:1], s[2:3], 2
	v_cndmask_b32_e32 v0, v0, v1, vcc
	v_cmp_o_f32_e32 vcc, v15, v14
	s_add_u32 s0, s12, s0
	s_addc_u32 s1, s13, s1
	v_cndmask_b32_e32 v0, v3, v0, vcc
	v_mov_b32_e32 v1, 0
	global_store_dword v1, v0, s[0:1]
	s_endpgm
.LBB5_19:
                                        ; implicit-def: $sgpr24_sgpr25
	s_branch .LBB5_2
.LBB5_20:
                                        ; implicit-def: $sgpr26_sgpr27
	s_branch .LBB5_5
	.section	.rodata,"a",@progbits
	.p2align	6, 0x0
	.amdhsa_kernel _ZN2at6native12_GLOBAL__N_122cdist_kernel_cuda_implIfNS1_5distsIfE1pEEEvPT_PKS6_S9_S6_lllll
		.amdhsa_group_segment_fixed_size 1024
		.amdhsa_private_segment_fixed_size 0
		.amdhsa_kernarg_size 328
		.amdhsa_user_sgpr_count 2
		.amdhsa_user_sgpr_dispatch_ptr 0
		.amdhsa_user_sgpr_queue_ptr 0
		.amdhsa_user_sgpr_kernarg_segment_ptr 1
		.amdhsa_user_sgpr_dispatch_id 0
		.amdhsa_user_sgpr_kernarg_preload_length 0
		.amdhsa_user_sgpr_kernarg_preload_offset 0
		.amdhsa_user_sgpr_private_segment_size 0
		.amdhsa_uses_dynamic_stack 0
		.amdhsa_enable_private_segment 0
		.amdhsa_system_sgpr_workgroup_id_x 1
		.amdhsa_system_sgpr_workgroup_id_y 0
		.amdhsa_system_sgpr_workgroup_id_z 0
		.amdhsa_system_sgpr_workgroup_info 0
		.amdhsa_system_vgpr_workitem_id 0
		.amdhsa_next_free_vgpr 31
		.amdhsa_next_free_sgpr 40
		.amdhsa_accum_offset 32
		.amdhsa_reserve_vcc 1
		.amdhsa_float_round_mode_32 0
		.amdhsa_float_round_mode_16_64 0
		.amdhsa_float_denorm_mode_32 3
		.amdhsa_float_denorm_mode_16_64 3
		.amdhsa_dx10_clamp 1
		.amdhsa_ieee_mode 1
		.amdhsa_fp16_overflow 0
		.amdhsa_tg_split 0
		.amdhsa_exception_fp_ieee_invalid_op 0
		.amdhsa_exception_fp_denorm_src 0
		.amdhsa_exception_fp_ieee_div_zero 0
		.amdhsa_exception_fp_ieee_overflow 0
		.amdhsa_exception_fp_ieee_underflow 0
		.amdhsa_exception_fp_ieee_inexact 0
		.amdhsa_exception_int_div_zero 0
	.end_amdhsa_kernel
	.section	.text._ZN2at6native12_GLOBAL__N_122cdist_kernel_cuda_implIfNS1_5distsIfE1pEEEvPT_PKS6_S9_S6_lllll,"axG",@progbits,_ZN2at6native12_GLOBAL__N_122cdist_kernel_cuda_implIfNS1_5distsIfE1pEEEvPT_PKS6_S9_S6_lllll,comdat
.Lfunc_end5:
	.size	_ZN2at6native12_GLOBAL__N_122cdist_kernel_cuda_implIfNS1_5distsIfE1pEEEvPT_PKS6_S9_S6_lllll, .Lfunc_end5-_ZN2at6native12_GLOBAL__N_122cdist_kernel_cuda_implIfNS1_5distsIfE1pEEEvPT_PKS6_S9_S6_lllll
                                        ; -- End function
	.set _ZN2at6native12_GLOBAL__N_122cdist_kernel_cuda_implIfNS1_5distsIfE1pEEEvPT_PKS6_S9_S6_lllll.num_vgpr, 31
	.set _ZN2at6native12_GLOBAL__N_122cdist_kernel_cuda_implIfNS1_5distsIfE1pEEEvPT_PKS6_S9_S6_lllll.num_agpr, 0
	.set _ZN2at6native12_GLOBAL__N_122cdist_kernel_cuda_implIfNS1_5distsIfE1pEEEvPT_PKS6_S9_S6_lllll.numbered_sgpr, 40
	.set _ZN2at6native12_GLOBAL__N_122cdist_kernel_cuda_implIfNS1_5distsIfE1pEEEvPT_PKS6_S9_S6_lllll.num_named_barrier, 0
	.set _ZN2at6native12_GLOBAL__N_122cdist_kernel_cuda_implIfNS1_5distsIfE1pEEEvPT_PKS6_S9_S6_lllll.private_seg_size, 0
	.set _ZN2at6native12_GLOBAL__N_122cdist_kernel_cuda_implIfNS1_5distsIfE1pEEEvPT_PKS6_S9_S6_lllll.uses_vcc, 1
	.set _ZN2at6native12_GLOBAL__N_122cdist_kernel_cuda_implIfNS1_5distsIfE1pEEEvPT_PKS6_S9_S6_lllll.uses_flat_scratch, 0
	.set _ZN2at6native12_GLOBAL__N_122cdist_kernel_cuda_implIfNS1_5distsIfE1pEEEvPT_PKS6_S9_S6_lllll.has_dyn_sized_stack, 0
	.set _ZN2at6native12_GLOBAL__N_122cdist_kernel_cuda_implIfNS1_5distsIfE1pEEEvPT_PKS6_S9_S6_lllll.has_recursion, 0
	.set _ZN2at6native12_GLOBAL__N_122cdist_kernel_cuda_implIfNS1_5distsIfE1pEEEvPT_PKS6_S9_S6_lllll.has_indirect_call, 0
	.section	.AMDGPU.csdata,"",@progbits
; Kernel info:
; codeLenInByte = 4428
; TotalNumSgprs: 46
; NumVgprs: 31
; NumAgprs: 0
; TotalNumVgprs: 31
; ScratchSize: 0
; MemoryBound: 0
; FloatMode: 240
; IeeeMode: 1
; LDSByteSize: 1024 bytes/workgroup (compile time only)
; SGPRBlocks: 5
; VGPRBlocks: 3
; NumSGPRsForWavesPerEU: 46
; NumVGPRsForWavesPerEU: 31
; AccumOffset: 32
; Occupancy: 8
; WaveLimiterHint : 0
; COMPUTE_PGM_RSRC2:SCRATCH_EN: 0
; COMPUTE_PGM_RSRC2:USER_SGPR: 2
; COMPUTE_PGM_RSRC2:TRAP_HANDLER: 0
; COMPUTE_PGM_RSRC2:TGID_X_EN: 1
; COMPUTE_PGM_RSRC2:TGID_Y_EN: 0
; COMPUTE_PGM_RSRC2:TGID_Z_EN: 0
; COMPUTE_PGM_RSRC2:TIDIG_COMP_CNT: 0
; COMPUTE_PGM_RSRC3_GFX90A:ACCUM_OFFSET: 7
; COMPUTE_PGM_RSRC3_GFX90A:TG_SPLIT: 0
	.section	.text._ZN2at6native12_GLOBAL__N_122cdist_kernel_cuda_implIfNS1_5distsIfE4zeroEEEvPT_PKS6_S9_S6_lllll,"axG",@progbits,_ZN2at6native12_GLOBAL__N_122cdist_kernel_cuda_implIfNS1_5distsIfE4zeroEEEvPT_PKS6_S9_S6_lllll,comdat
	.globl	_ZN2at6native12_GLOBAL__N_122cdist_kernel_cuda_implIfNS1_5distsIfE4zeroEEEvPT_PKS6_S9_S6_lllll ; -- Begin function _ZN2at6native12_GLOBAL__N_122cdist_kernel_cuda_implIfNS1_5distsIfE4zeroEEEvPT_PKS6_S9_S6_lllll
	.p2align	8
	.type	_ZN2at6native12_GLOBAL__N_122cdist_kernel_cuda_implIfNS1_5distsIfE4zeroEEEvPT_PKS6_S9_S6_lllll,@function
_ZN2at6native12_GLOBAL__N_122cdist_kernel_cuda_implIfNS1_5distsIfE4zeroEEEvPT_PKS6_S9_S6_lllll: ; @_ZN2at6native12_GLOBAL__N_122cdist_kernel_cuda_implIfNS1_5distsIfE4zeroEEEvPT_PKS6_S9_S6_lllll
; %bb.0:
	s_load_dwordx8 s[4:11], s[0:1], 0x20
	s_load_dwordx2 s[16:17], s[0:1], 0x40
	s_mov_b32 s3, 0
	s_mov_b32 s12, s3
	s_waitcnt lgkmcnt(0)
	s_mov_b32 s13, s9
	s_cmp_lg_u64 s[12:13], 0
	s_cbranch_scc0 .LBB6_23
; %bb.1:
	s_ashr_i32 s12, s9, 31
	s_add_u32 s14, s8, s12
	s_mov_b32 s13, s12
	s_addc_u32 s15, s9, s12
	s_xor_b64 s[18:19], s[14:15], s[12:13]
	v_cvt_f32_u32_e32 v1, s18
	v_cvt_f32_u32_e32 v2, s19
	s_sub_u32 s22, 0, s18
	s_subb_u32 s23, 0, s19
	v_fmamk_f32 v1, v2, 0x4f800000, v1
	v_rcp_f32_e32 v1, v1
	s_nop 0
	v_mul_f32_e32 v1, 0x5f7ffffc, v1
	v_mul_f32_e32 v2, 0x2f800000, v1
	v_trunc_f32_e32 v2, v2
	v_fmamk_f32 v1, v2, 0xcf800000, v1
	v_cvt_u32_f32_e32 v2, v2
	v_cvt_u32_f32_e32 v1, v1
	v_readfirstlane_b32 s24, v2
	v_readfirstlane_b32 s20, v1
	s_mul_i32 s21, s22, s24
	s_mul_hi_u32 s26, s22, s20
	s_mul_i32 s25, s23, s20
	s_add_i32 s21, s26, s21
	s_add_i32 s21, s21, s25
	s_mul_i32 s27, s22, s20
	s_mul_i32 s26, s20, s21
	s_mul_hi_u32 s28, s20, s27
	s_mul_hi_u32 s25, s20, s21
	s_add_u32 s26, s28, s26
	s_addc_u32 s25, 0, s25
	s_mul_hi_u32 s29, s24, s27
	s_mul_i32 s27, s24, s27
	s_add_u32 s26, s26, s27
	s_mul_hi_u32 s28, s24, s21
	s_addc_u32 s25, s25, s29
	s_addc_u32 s26, s28, 0
	s_mul_i32 s21, s24, s21
	s_add_u32 s21, s25, s21
	s_addc_u32 s25, 0, s26
	s_add_u32 s26, s20, s21
	s_cselect_b64 s[20:21], -1, 0
	s_cmp_lg_u64 s[20:21], 0
	s_addc_u32 s24, s24, s25
	s_mul_i32 s20, s22, s24
	s_mul_hi_u32 s21, s22, s26
	s_add_i32 s20, s21, s20
	s_mul_i32 s23, s23, s26
	s_add_i32 s20, s20, s23
	s_mul_i32 s22, s22, s26
	s_mul_hi_u32 s23, s24, s22
	s_mul_i32 s25, s24, s22
	s_mul_i32 s28, s26, s20
	s_mul_hi_u32 s22, s26, s22
	s_mul_hi_u32 s27, s26, s20
	s_add_u32 s22, s22, s28
	s_addc_u32 s27, 0, s27
	s_add_u32 s22, s22, s25
	s_mul_hi_u32 s21, s24, s20
	s_addc_u32 s22, s27, s23
	s_addc_u32 s21, s21, 0
	s_mul_i32 s20, s24, s20
	s_add_u32 s20, s22, s20
	s_addc_u32 s22, 0, s21
	s_add_u32 s23, s26, s20
	s_cselect_b64 s[20:21], -1, 0
	s_cmp_lg_u64 s[20:21], 0
	s_addc_u32 s22, s24, s22
	s_add_u32 s20, s2, 0
	s_addc_u32 s21, 0, 0
	s_xor_b64 s[20:21], s[20:21], 0
	s_mul_i32 s25, s20, s22
	s_mul_hi_u32 s26, s20, s23
	s_mul_hi_u32 s24, s20, s22
	s_add_u32 s25, s26, s25
	s_addc_u32 s24, 0, s24
	s_mul_hi_u32 s27, s21, s23
	s_mul_i32 s23, s21, s23
	s_add_u32 s23, s25, s23
	s_mul_hi_u32 s26, s21, s22
	s_addc_u32 s23, s24, s27
	s_addc_u32 s24, s26, 0
	s_mul_i32 s22, s21, s22
	s_add_u32 s26, s23, s22
	s_addc_u32 s27, 0, s24
	s_mul_i32 s22, s18, s27
	s_mul_hi_u32 s23, s18, s26
	s_add_i32 s22, s23, s22
	s_mul_i32 s23, s19, s26
	s_add_i32 s28, s22, s23
	s_sub_i32 s24, s21, s28
	s_mul_i32 s22, s18, s26
	s_sub_u32 s20, s20, s22
	s_cselect_b64 s[22:23], -1, 0
	s_cmp_lg_u64 s[22:23], 0
	s_subb_u32 s29, s24, s19
	s_sub_u32 s30, s20, s18
	s_cselect_b64 s[24:25], -1, 0
	s_cmp_lg_u64 s[24:25], 0
	s_subb_u32 s24, s29, 0
	s_cmp_ge_u32 s24, s19
	s_cselect_b32 s25, -1, 0
	s_cmp_ge_u32 s30, s18
	s_cselect_b32 s29, -1, 0
	s_cmp_eq_u32 s24, s19
	s_cselect_b32 s24, s29, s25
	s_add_u32 s25, s26, 1
	s_addc_u32 s29, s27, 0
	s_add_u32 s30, s26, 2
	s_addc_u32 s31, s27, 0
	s_cmp_lg_u32 s24, 0
	s_cselect_b32 s24, s30, s25
	s_cselect_b32 s25, s31, s29
	s_cmp_lg_u64 s[22:23], 0
	s_subb_u32 s21, s21, s28
	s_cmp_ge_u32 s21, s19
	s_cselect_b32 s22, -1, 0
	s_cmp_ge_u32 s20, s18
	s_cselect_b32 s18, -1, 0
	s_cmp_eq_u32 s21, s19
	s_cselect_b32 s18, s18, s22
	s_cmp_lg_u32 s18, 0
	s_cselect_b32 s19, s25, s27
	s_cselect_b32 s18, s24, s26
	s_xor_b64 s[12:13], 0, s[12:13]
	s_xor_b64 s[18:19], s[18:19], s[12:13]
	s_sub_u32 s18, s18, s12
	s_subb_u32 s19, s19, s13
	s_cbranch_execnz .LBB6_3
.LBB6_2:
	v_cvt_f32_u32_e32 v1, s8
	s_sub_i32 s12, 0, s8
	s_mov_b32 s19, 0
	v_rcp_iflag_f32_e32 v1, v1
	s_nop 0
	v_mul_f32_e32 v1, 0x4f7ffffe, v1
	v_cvt_u32_f32_e32 v1, v1
	s_nop 0
	v_readfirstlane_b32 s13, v1
	s_mul_i32 s12, s12, s13
	s_mul_hi_u32 s12, s13, s12
	s_add_i32 s13, s13, s12
	s_mul_hi_u32 s12, s2, s13
	s_mul_i32 s14, s12, s8
	s_sub_i32 s14, s2, s14
	s_add_i32 s13, s12, 1
	s_sub_i32 s15, s14, s8
	s_cmp_ge_u32 s14, s8
	s_cselect_b32 s12, s13, s12
	s_cselect_b32 s14, s15, s14
	s_add_i32 s13, s12, 1
	s_cmp_ge_u32 s14, s8
	s_cselect_b32 s18, s13, s12
.LBB6_3:
	s_mul_i32 s9, s18, s9
	s_mul_hi_u32 s12, s18, s8
	s_add_i32 s9, s12, s9
	s_mul_i32 s12, s19, s8
	s_add_i32 s9, s9, s12
	s_mul_i32 s8, s18, s8
	s_sub_u32 s8, s2, s8
	s_subb_u32 s9, 0, s9
	s_or_b64 s[12:13], s[8:9], s[4:5]
	s_mov_b32 s12, 0
	s_cmp_lg_u64 s[12:13], 0
	s_cbranch_scc0 .LBB6_24
; %bb.4:
	s_ashr_i32 s12, s5, 31
	s_add_u32 s14, s4, s12
	s_mov_b32 s13, s12
	s_addc_u32 s15, s5, s12
	s_xor_b64 s[20:21], s[14:15], s[12:13]
	v_cvt_f32_u32_e32 v1, s20
	v_cvt_f32_u32_e32 v2, s21
	s_sub_u32 s24, 0, s20
	s_subb_u32 s25, 0, s21
	v_fmamk_f32 v1, v2, 0x4f800000, v1
	v_rcp_f32_e32 v1, v1
	s_nop 0
	v_mul_f32_e32 v1, 0x5f7ffffc, v1
	v_mul_f32_e32 v2, 0x2f800000, v1
	v_trunc_f32_e32 v2, v2
	v_fmamk_f32 v1, v2, 0xcf800000, v1
	v_cvt_u32_f32_e32 v2, v2
	v_cvt_u32_f32_e32 v1, v1
	v_readfirstlane_b32 s26, v2
	v_readfirstlane_b32 s22, v1
	s_mul_i32 s23, s24, s26
	s_mul_hi_u32 s28, s24, s22
	s_mul_i32 s27, s25, s22
	s_add_i32 s23, s28, s23
	s_add_i32 s23, s23, s27
	s_mul_i32 s29, s24, s22
	s_mul_i32 s28, s22, s23
	s_mul_hi_u32 s30, s22, s29
	s_mul_hi_u32 s27, s22, s23
	s_add_u32 s28, s30, s28
	s_addc_u32 s27, 0, s27
	s_mul_hi_u32 s31, s26, s29
	s_mul_i32 s29, s26, s29
	s_add_u32 s28, s28, s29
	s_mul_hi_u32 s30, s26, s23
	s_addc_u32 s27, s27, s31
	s_addc_u32 s28, s30, 0
	s_mul_i32 s23, s26, s23
	s_add_u32 s23, s27, s23
	s_addc_u32 s27, 0, s28
	s_add_u32 s28, s22, s23
	s_cselect_b64 s[22:23], -1, 0
	s_cmp_lg_u64 s[22:23], 0
	s_addc_u32 s26, s26, s27
	s_mul_i32 s22, s24, s26
	s_mul_hi_u32 s23, s24, s28
	s_add_i32 s22, s23, s22
	s_mul_i32 s25, s25, s28
	s_add_i32 s22, s22, s25
	s_mul_i32 s24, s24, s28
	s_mul_hi_u32 s25, s26, s24
	s_mul_i32 s27, s26, s24
	s_mul_i32 s30, s28, s22
	s_mul_hi_u32 s24, s28, s24
	s_mul_hi_u32 s29, s28, s22
	s_add_u32 s24, s24, s30
	s_addc_u32 s29, 0, s29
	s_add_u32 s24, s24, s27
	s_mul_hi_u32 s23, s26, s22
	s_addc_u32 s24, s29, s25
	s_addc_u32 s23, s23, 0
	s_mul_i32 s22, s26, s22
	s_add_u32 s22, s24, s22
	s_addc_u32 s24, 0, s23
	s_add_u32 s27, s28, s22
	s_cselect_b64 s[22:23], -1, 0
	s_cmp_lg_u64 s[22:23], 0
	s_addc_u32 s26, s26, s24
	s_ashr_i32 s22, s9, 31
	s_add_u32 s24, s8, s22
	s_mov_b32 s23, s22
	s_addc_u32 s25, s9, s22
	s_xor_b64 s[24:25], s[24:25], s[22:23]
	s_mul_i32 s29, s24, s26
	s_mul_hi_u32 s30, s24, s27
	s_mul_hi_u32 s28, s24, s26
	s_add_u32 s29, s30, s29
	s_addc_u32 s28, 0, s28
	s_mul_hi_u32 s31, s25, s27
	s_mul_i32 s27, s25, s27
	s_add_u32 s27, s29, s27
	s_mul_hi_u32 s30, s25, s26
	s_addc_u32 s27, s28, s31
	s_addc_u32 s28, s30, 0
	s_mul_i32 s26, s25, s26
	s_add_u32 s30, s27, s26
	s_addc_u32 s31, 0, s28
	s_mul_i32 s26, s20, s31
	s_mul_hi_u32 s27, s20, s30
	s_add_i32 s26, s27, s26
	s_mul_i32 s27, s21, s30
	s_add_i32 s33, s26, s27
	s_sub_i32 s28, s25, s33
	s_mul_i32 s26, s20, s30
	s_sub_u32 s24, s24, s26
	s_cselect_b64 s[26:27], -1, 0
	s_cmp_lg_u64 s[26:27], 0
	s_subb_u32 s34, s28, s21
	s_sub_u32 s35, s24, s20
	s_cselect_b64 s[28:29], -1, 0
	s_cmp_lg_u64 s[28:29], 0
	s_subb_u32 s28, s34, 0
	s_cmp_ge_u32 s28, s21
	s_cselect_b32 s29, -1, 0
	s_cmp_ge_u32 s35, s20
	s_cselect_b32 s34, -1, 0
	s_cmp_eq_u32 s28, s21
	s_cselect_b32 s28, s34, s29
	s_add_u32 s29, s30, 1
	s_addc_u32 s34, s31, 0
	s_add_u32 s35, s30, 2
	s_addc_u32 s36, s31, 0
	s_cmp_lg_u32 s28, 0
	s_cselect_b32 s28, s35, s29
	s_cselect_b32 s29, s36, s34
	s_cmp_lg_u64 s[26:27], 0
	s_subb_u32 s25, s25, s33
	s_cmp_ge_u32 s25, s21
	s_cselect_b32 s26, -1, 0
	s_cmp_ge_u32 s24, s20
	s_cselect_b32 s20, -1, 0
	s_cmp_eq_u32 s25, s21
	s_cselect_b32 s20, s20, s26
	s_cmp_lg_u32 s20, 0
	s_cselect_b32 s21, s29, s31
	s_cselect_b32 s20, s28, s30
	s_xor_b64 s[12:13], s[22:23], s[12:13]
	s_xor_b64 s[20:21], s[20:21], s[12:13]
	s_sub_u32 s20, s20, s12
	s_subb_u32 s21, s21, s13
	s_cbranch_execnz .LBB6_6
.LBB6_5:
	v_cvt_f32_u32_e32 v1, s4
	s_sub_i32 s12, 0, s4
	s_mov_b32 s21, 0
	v_rcp_iflag_f32_e32 v1, v1
	s_nop 0
	v_mul_f32_e32 v1, 0x4f7ffffe, v1
	v_cvt_u32_f32_e32 v1, v1
	s_nop 0
	v_readfirstlane_b32 s13, v1
	s_mul_i32 s12, s12, s13
	s_mul_hi_u32 s12, s13, s12
	s_add_i32 s13, s13, s12
	s_mul_hi_u32 s12, s8, s13
	s_mul_i32 s14, s12, s4
	s_sub_i32 s14, s8, s14
	s_add_i32 s13, s12, 1
	s_sub_i32 s15, s14, s4
	s_cmp_ge_u32 s14, s4
	s_cselect_b32 s12, s13, s12
	s_cselect_b32 s14, s15, s14
	s_add_i32 s13, s12, 1
	s_cmp_ge_u32 s14, s4
	s_cselect_b32 s20, s13, s12
.LBB6_6:
	s_load_dwordx4 s[12:15], s[0:1], 0x0
	s_load_dwordx2 s[24:25], s[0:1], 0x10
	s_load_dword s26, s[0:1], 0x54
	v_mov_b32_e32 v1, 0
	v_cmp_gt_i64_e32 vcc, s[6:7], v[0:1]
	s_and_saveexec_b64 s[0:1], vcc
	s_cbranch_execz .LBB6_14
; %bb.7:
	s_mul_i32 s11, s18, s11
	s_mul_hi_u32 s22, s18, s10
	s_add_i32 s11, s22, s11
	s_mul_i32 s22, s19, s10
	s_add_i32 s11, s11, s22
	s_mul_i32 s10, s18, s10
	s_lshl_b64 s[10:11], s[10:11], 2
	s_waitcnt lgkmcnt(0)
	s_add_u32 s14, s14, s10
	s_addc_u32 s15, s15, s11
	s_mul_i32 s10, s20, s7
	s_mul_hi_u32 s11, s20, s6
	s_add_i32 s10, s11, s10
	s_mul_i32 s11, s21, s6
	s_add_i32 s11, s10, s11
	s_mul_i32 s10, s20, s6
	s_lshl_b64 s[10:11], s[10:11], 2
	s_add_u32 s10, s14, s10
	s_addc_u32 s11, s15, s11
	s_lshl_b64 s[14:15], s[6:7], 2
	s_add_u32 s14, s10, s14
	s_mul_i32 s17, s18, s17
	s_mul_hi_u32 s22, s18, s16
	s_addc_u32 s15, s11, s15
	s_add_i32 s17, s22, s17
	s_mul_i32 s19, s19, s16
	s_add_i32 s17, s17, s19
	s_mul_i32 s16, s18, s16
	s_lshl_b64 s[16:17], s[16:17], 2
	s_add_u32 s16, s24, s16
	s_mul_i32 s5, s20, s5
	s_mul_hi_u32 s18, s20, s4
	s_addc_u32 s17, s25, s17
	s_add_i32 s5, s18, s5
	s_mul_i32 s18, s21, s4
	s_add_i32 s5, s5, s18
	s_mul_i32 s4, s20, s4
	s_sub_u32 s4, s8, s4
	s_subb_u32 s5, s9, s5
	s_mul_i32 s7, s4, s7
	s_mul_hi_u32 s8, s4, s6
	s_add_i32 s7, s8, s7
	s_mul_i32 s5, s5, s6
	s_add_i32 s5, s7, s5
	s_mul_i32 s4, s4, s6
	s_lshl_b64 s[4:5], s[4:5], 2
	s_add_u32 s4, s16, s4
	v_lshlrev_b32_e32 v2, 2, v0
	s_mov_b32 s23, 0
	v_mov_b32_e32 v3, 0
	s_addc_u32 s5, s17, s5
	s_and_b32 s8, s26, 0xffff
	v_lshl_add_u64 v[4:5], s[10:11], 0, v[2:3]
	s_lshl_b32 s22, s8, 2
	s_mov_b64 s[6:7], 0
	s_lshl_b32 s8, s8, 2
	s_mov_b32 s9, s23
	v_mov_b32_e32 v6, v3
	s_branch .LBB6_10
.LBB6_8:                                ;   in Loop: Header=BB6_10 Depth=1
	s_or_b64 exec, exec, s[18:19]
	v_mov_b32_e32 v1, v6
.LBB6_9:                                ;   in Loop: Header=BB6_10 Depth=1
	s_or_b64 exec, exec, s[16:17]
	v_lshl_add_u64 v[4:5], v[4:5], 0, s[8:9]
	v_cmp_le_u64_e32 vcc, s[14:15], v[4:5]
	v_lshl_add_u64 v[2:3], v[2:3], 0, s[22:23]
	s_or_b64 s[6:7], vcc, s[6:7]
	v_mov_b32_e32 v6, v1
	s_andn2_b64 exec, exec, s[6:7]
	s_cbranch_execz .LBB6_13
.LBB6_10:                               ; =>This Inner Loop Header: Depth=1
	v_lshl_add_u64 v[10:11], s[10:11], 0, v[2:3]
	v_lshl_add_u64 v[8:9], s[4:5], 0, v[2:3]
	global_load_dword v1, v[10:11], off
	global_load_dword v7, v[8:9], off
	s_waitcnt vmcnt(0)
	v_sub_f32_e32 v7, v1, v7
	v_and_b32_e32 v1, 0x7fffffff, v7
	v_cmp_o_f32_e32 vcc, v7, v7
	s_and_saveexec_b64 s[16:17], vcc
	s_cbranch_execz .LBB6_9
; %bb.11:                               ;   in Loop: Header=BB6_10 Depth=1
	v_cmp_neq_f32_e32 vcc, 0, v7
	s_and_saveexec_b64 s[18:19], vcc
	s_cbranch_execz .LBB6_8
; %bb.12:                               ;   in Loop: Header=BB6_10 Depth=1
	v_add_f32_e32 v6, 1.0, v6
	s_branch .LBB6_8
.LBB6_13:
	s_or_b64 exec, exec, s[6:7]
.LBB6_14:
	s_or_b64 exec, exec, s[0:1]
	v_mbcnt_lo_u32_b32 v2, -1, 0
	v_mbcnt_hi_u32_b32 v6, -1, v2
	v_mov_b32_e32 v2, 0x80
	v_lshl_or_b32 v2, v6, 2, v2
	ds_bpermute_b32 v3, v2, v1
	v_and_b32_e32 v7, 63, v6
	v_cmp_gt_u32_e32 vcc, 48, v7
	s_waitcnt lgkmcnt(0)
	s_barrier
	v_cndmask_b32_e64 v4, 0, 16, vcc
	v_add_f32_e32 v5, v1, v3
	v_add_lshl_u32 v1, v4, v6, 2
	ds_bpermute_b32 v4, v1, v5
	v_cmp_gt_u32_e32 vcc, 56, v7
	s_waitcnt lgkmcnt(0)
	v_add_f32_e32 v5, v5, v4
	v_cndmask_b32_e64 v3, 0, 8, vcc
	v_add_lshl_u32 v3, v3, v6, 2
	ds_bpermute_b32 v8, v3, v5
	v_cmp_gt_u32_e32 vcc, 60, v7
	s_waitcnt lgkmcnt(0)
	v_add_f32_e32 v8, v5, v8
	v_cndmask_b32_e64 v4, 0, 4, vcc
	;; [unrolled: 6-line block ×3, first 2 shown]
	v_add_lshl_u32 v5, v5, v6, 2
	ds_bpermute_b32 v10, v5, v9
	v_cmp_ne_u32_e32 vcc, 63, v7
	v_and_b32_e32 v8, 63, v0
	s_waitcnt lgkmcnt(0)
	v_add_f32_e32 v7, v9, v10
	v_addc_co_u32_e32 v6, vcc, 0, v6, vcc
	v_lshlrev_b32_e32 v6, 2, v6
	ds_bpermute_b32 v9, v6, v7
	v_cmp_eq_u32_e32 vcc, 0, v8
	s_and_saveexec_b64 s[0:1], vcc
	s_cbranch_execz .LBB6_16
; %bb.15:
	s_waitcnt lgkmcnt(0)
	v_add_f32_e32 v7, v7, v9
	v_lshrrev_b32_e32 v9, 4, v0
	ds_write_b32 v9, v7
.LBB6_16:
	s_or_b64 exec, exec, s[0:1]
	s_and_b32 s0, 0xffff, s26
	s_lshr_b32 s0, s0, 6
	v_cmp_gt_u32_e32 vcc, s0, v0
	v_mov_b32_e32 v7, 0
	s_waitcnt lgkmcnt(0)
	s_barrier
	s_and_saveexec_b64 s[0:1], vcc
	s_cbranch_execnz .LBB6_20
; %bb.17:
	s_or_b64 exec, exec, s[0:1]
	v_cmp_gt_u32_e32 vcc, 64, v0
	s_and_saveexec_b64 s[0:1], vcc
	s_cbranch_execnz .LBB6_21
.LBB6_18:
	s_or_b64 exec, exec, s[0:1]
	v_cmp_eq_u32_e32 vcc, 0, v0
	s_and_saveexec_b64 s[0:1], vcc
	s_cbranch_execnz .LBB6_22
.LBB6_19:
	s_endpgm
.LBB6_20:
	v_lshlrev_b32_e32 v7, 2, v8
	ds_read_b32 v7, v7
	s_or_b64 exec, exec, s[0:1]
	v_cmp_gt_u32_e32 vcc, 64, v0
	s_and_saveexec_b64 s[0:1], vcc
	s_cbranch_execz .LBB6_18
.LBB6_21:
	s_waitcnt lgkmcnt(0)
	ds_bpermute_b32 v2, v2, v7
	s_waitcnt lgkmcnt(0)
	v_add_f32_e32 v2, v7, v2
	ds_bpermute_b32 v1, v1, v2
	s_waitcnt lgkmcnt(0)
	v_add_f32_e32 v1, v2, v1
	;; [unrolled: 3-line block ×6, first 2 shown]
	s_or_b64 exec, exec, s[0:1]
	v_cmp_eq_u32_e32 vcc, 0, v0
	s_and_saveexec_b64 s[0:1], vcc
	s_cbranch_execz .LBB6_19
.LBB6_22:
	s_lshl_b64 s[0:1], s[2:3], 2
	s_add_u32 s0, s12, s0
	s_addc_u32 s1, s13, s1
	v_mov_b32_e32 v0, 0
	s_waitcnt lgkmcnt(0)
	global_store_dword v0, v7, s[0:1]
	s_endpgm
.LBB6_23:
                                        ; implicit-def: $sgpr18_sgpr19
	s_branch .LBB6_2
.LBB6_24:
                                        ; implicit-def: $sgpr20_sgpr21
	s_branch .LBB6_5
	.section	.rodata,"a",@progbits
	.p2align	6, 0x0
	.amdhsa_kernel _ZN2at6native12_GLOBAL__N_122cdist_kernel_cuda_implIfNS1_5distsIfE4zeroEEEvPT_PKS6_S9_S6_lllll
		.amdhsa_group_segment_fixed_size 1024
		.amdhsa_private_segment_fixed_size 0
		.amdhsa_kernarg_size 328
		.amdhsa_user_sgpr_count 2
		.amdhsa_user_sgpr_dispatch_ptr 0
		.amdhsa_user_sgpr_queue_ptr 0
		.amdhsa_user_sgpr_kernarg_segment_ptr 1
		.amdhsa_user_sgpr_dispatch_id 0
		.amdhsa_user_sgpr_kernarg_preload_length 0
		.amdhsa_user_sgpr_kernarg_preload_offset 0
		.amdhsa_user_sgpr_private_segment_size 0
		.amdhsa_uses_dynamic_stack 0
		.amdhsa_enable_private_segment 0
		.amdhsa_system_sgpr_workgroup_id_x 1
		.amdhsa_system_sgpr_workgroup_id_y 0
		.amdhsa_system_sgpr_workgroup_id_z 0
		.amdhsa_system_sgpr_workgroup_info 0
		.amdhsa_system_vgpr_workitem_id 0
		.amdhsa_next_free_vgpr 12
		.amdhsa_next_free_sgpr 37
		.amdhsa_accum_offset 12
		.amdhsa_reserve_vcc 1
		.amdhsa_float_round_mode_32 0
		.amdhsa_float_round_mode_16_64 0
		.amdhsa_float_denorm_mode_32 3
		.amdhsa_float_denorm_mode_16_64 3
		.amdhsa_dx10_clamp 1
		.amdhsa_ieee_mode 1
		.amdhsa_fp16_overflow 0
		.amdhsa_tg_split 0
		.amdhsa_exception_fp_ieee_invalid_op 0
		.amdhsa_exception_fp_denorm_src 0
		.amdhsa_exception_fp_ieee_div_zero 0
		.amdhsa_exception_fp_ieee_overflow 0
		.amdhsa_exception_fp_ieee_underflow 0
		.amdhsa_exception_fp_ieee_inexact 0
		.amdhsa_exception_int_div_zero 0
	.end_amdhsa_kernel
	.section	.text._ZN2at6native12_GLOBAL__N_122cdist_kernel_cuda_implIfNS1_5distsIfE4zeroEEEvPT_PKS6_S9_S6_lllll,"axG",@progbits,_ZN2at6native12_GLOBAL__N_122cdist_kernel_cuda_implIfNS1_5distsIfE4zeroEEEvPT_PKS6_S9_S6_lllll,comdat
.Lfunc_end6:
	.size	_ZN2at6native12_GLOBAL__N_122cdist_kernel_cuda_implIfNS1_5distsIfE4zeroEEEvPT_PKS6_S9_S6_lllll, .Lfunc_end6-_ZN2at6native12_GLOBAL__N_122cdist_kernel_cuda_implIfNS1_5distsIfE4zeroEEEvPT_PKS6_S9_S6_lllll
                                        ; -- End function
	.set _ZN2at6native12_GLOBAL__N_122cdist_kernel_cuda_implIfNS1_5distsIfE4zeroEEEvPT_PKS6_S9_S6_lllll.num_vgpr, 12
	.set _ZN2at6native12_GLOBAL__N_122cdist_kernel_cuda_implIfNS1_5distsIfE4zeroEEEvPT_PKS6_S9_S6_lllll.num_agpr, 0
	.set _ZN2at6native12_GLOBAL__N_122cdist_kernel_cuda_implIfNS1_5distsIfE4zeroEEEvPT_PKS6_S9_S6_lllll.numbered_sgpr, 37
	.set _ZN2at6native12_GLOBAL__N_122cdist_kernel_cuda_implIfNS1_5distsIfE4zeroEEEvPT_PKS6_S9_S6_lllll.num_named_barrier, 0
	.set _ZN2at6native12_GLOBAL__N_122cdist_kernel_cuda_implIfNS1_5distsIfE4zeroEEEvPT_PKS6_S9_S6_lllll.private_seg_size, 0
	.set _ZN2at6native12_GLOBAL__N_122cdist_kernel_cuda_implIfNS1_5distsIfE4zeroEEEvPT_PKS6_S9_S6_lllll.uses_vcc, 1
	.set _ZN2at6native12_GLOBAL__N_122cdist_kernel_cuda_implIfNS1_5distsIfE4zeroEEEvPT_PKS6_S9_S6_lllll.uses_flat_scratch, 0
	.set _ZN2at6native12_GLOBAL__N_122cdist_kernel_cuda_implIfNS1_5distsIfE4zeroEEEvPT_PKS6_S9_S6_lllll.has_dyn_sized_stack, 0
	.set _ZN2at6native12_GLOBAL__N_122cdist_kernel_cuda_implIfNS1_5distsIfE4zeroEEEvPT_PKS6_S9_S6_lllll.has_recursion, 0
	.set _ZN2at6native12_GLOBAL__N_122cdist_kernel_cuda_implIfNS1_5distsIfE4zeroEEEvPT_PKS6_S9_S6_lllll.has_indirect_call, 0
	.section	.AMDGPU.csdata,"",@progbits
; Kernel info:
; codeLenInByte = 2288
; TotalNumSgprs: 43
; NumVgprs: 12
; NumAgprs: 0
; TotalNumVgprs: 12
; ScratchSize: 0
; MemoryBound: 0
; FloatMode: 240
; IeeeMode: 1
; LDSByteSize: 1024 bytes/workgroup (compile time only)
; SGPRBlocks: 5
; VGPRBlocks: 1
; NumSGPRsForWavesPerEU: 43
; NumVGPRsForWavesPerEU: 12
; AccumOffset: 12
; Occupancy: 8
; WaveLimiterHint : 0
; COMPUTE_PGM_RSRC2:SCRATCH_EN: 0
; COMPUTE_PGM_RSRC2:USER_SGPR: 2
; COMPUTE_PGM_RSRC2:TRAP_HANDLER: 0
; COMPUTE_PGM_RSRC2:TGID_X_EN: 1
; COMPUTE_PGM_RSRC2:TGID_Y_EN: 0
; COMPUTE_PGM_RSRC2:TGID_Z_EN: 0
; COMPUTE_PGM_RSRC2:TIDIG_COMP_CNT: 0
; COMPUTE_PGM_RSRC3_GFX90A:ACCUM_OFFSET: 2
; COMPUTE_PGM_RSRC3_GFX90A:TG_SPLIT: 0
	.section	.text._ZN2at6native12_GLOBAL__N_122cdist_kernel_cuda_implIfNS1_5distsIfE3oneEEEvPT_PKS6_S9_S6_lllll,"axG",@progbits,_ZN2at6native12_GLOBAL__N_122cdist_kernel_cuda_implIfNS1_5distsIfE3oneEEEvPT_PKS6_S9_S6_lllll,comdat
	.globl	_ZN2at6native12_GLOBAL__N_122cdist_kernel_cuda_implIfNS1_5distsIfE3oneEEEvPT_PKS6_S9_S6_lllll ; -- Begin function _ZN2at6native12_GLOBAL__N_122cdist_kernel_cuda_implIfNS1_5distsIfE3oneEEEvPT_PKS6_S9_S6_lllll
	.p2align	8
	.type	_ZN2at6native12_GLOBAL__N_122cdist_kernel_cuda_implIfNS1_5distsIfE3oneEEEvPT_PKS6_S9_S6_lllll,@function
_ZN2at6native12_GLOBAL__N_122cdist_kernel_cuda_implIfNS1_5distsIfE3oneEEEvPT_PKS6_S9_S6_lllll: ; @_ZN2at6native12_GLOBAL__N_122cdist_kernel_cuda_implIfNS1_5distsIfE3oneEEEvPT_PKS6_S9_S6_lllll
; %bb.0:
	s_load_dwordx8 s[4:11], s[0:1], 0x20
	s_load_dwordx2 s[16:17], s[0:1], 0x40
	s_mov_b32 s3, 0
	s_mov_b32 s12, s3
	s_waitcnt lgkmcnt(0)
	s_mov_b32 s13, s9
	s_cmp_lg_u64 s[12:13], 0
	s_cbranch_scc0 .LBB7_19
; %bb.1:
	s_ashr_i32 s12, s9, 31
	s_add_u32 s14, s8, s12
	s_mov_b32 s13, s12
	s_addc_u32 s15, s9, s12
	s_xor_b64 s[18:19], s[14:15], s[12:13]
	v_cvt_f32_u32_e32 v1, s18
	v_cvt_f32_u32_e32 v2, s19
	s_sub_u32 s22, 0, s18
	s_subb_u32 s23, 0, s19
	v_fmamk_f32 v1, v2, 0x4f800000, v1
	v_rcp_f32_e32 v1, v1
	s_nop 0
	v_mul_f32_e32 v1, 0x5f7ffffc, v1
	v_mul_f32_e32 v2, 0x2f800000, v1
	v_trunc_f32_e32 v2, v2
	v_fmamk_f32 v1, v2, 0xcf800000, v1
	v_cvt_u32_f32_e32 v2, v2
	v_cvt_u32_f32_e32 v1, v1
	v_readfirstlane_b32 s24, v2
	v_readfirstlane_b32 s20, v1
	s_mul_i32 s21, s22, s24
	s_mul_hi_u32 s26, s22, s20
	s_mul_i32 s25, s23, s20
	s_add_i32 s21, s26, s21
	s_add_i32 s21, s21, s25
	s_mul_i32 s27, s22, s20
	s_mul_i32 s26, s20, s21
	s_mul_hi_u32 s28, s20, s27
	s_mul_hi_u32 s25, s20, s21
	s_add_u32 s26, s28, s26
	s_addc_u32 s25, 0, s25
	s_mul_hi_u32 s29, s24, s27
	s_mul_i32 s27, s24, s27
	s_add_u32 s26, s26, s27
	s_mul_hi_u32 s28, s24, s21
	s_addc_u32 s25, s25, s29
	s_addc_u32 s26, s28, 0
	s_mul_i32 s21, s24, s21
	s_add_u32 s21, s25, s21
	s_addc_u32 s25, 0, s26
	s_add_u32 s26, s20, s21
	s_cselect_b64 s[20:21], -1, 0
	s_cmp_lg_u64 s[20:21], 0
	s_addc_u32 s24, s24, s25
	s_mul_i32 s20, s22, s24
	s_mul_hi_u32 s21, s22, s26
	s_add_i32 s20, s21, s20
	s_mul_i32 s23, s23, s26
	s_add_i32 s20, s20, s23
	s_mul_i32 s22, s22, s26
	s_mul_hi_u32 s23, s24, s22
	s_mul_i32 s25, s24, s22
	s_mul_i32 s28, s26, s20
	s_mul_hi_u32 s22, s26, s22
	s_mul_hi_u32 s27, s26, s20
	s_add_u32 s22, s22, s28
	s_addc_u32 s27, 0, s27
	s_add_u32 s22, s22, s25
	s_mul_hi_u32 s21, s24, s20
	s_addc_u32 s22, s27, s23
	s_addc_u32 s21, s21, 0
	s_mul_i32 s20, s24, s20
	s_add_u32 s20, s22, s20
	s_addc_u32 s22, 0, s21
	s_add_u32 s23, s26, s20
	s_cselect_b64 s[20:21], -1, 0
	s_cmp_lg_u64 s[20:21], 0
	s_addc_u32 s22, s24, s22
	s_add_u32 s20, s2, 0
	s_addc_u32 s21, 0, 0
	s_xor_b64 s[20:21], s[20:21], 0
	s_mul_i32 s25, s20, s22
	s_mul_hi_u32 s26, s20, s23
	s_mul_hi_u32 s24, s20, s22
	s_add_u32 s25, s26, s25
	s_addc_u32 s24, 0, s24
	s_mul_hi_u32 s27, s21, s23
	s_mul_i32 s23, s21, s23
	s_add_u32 s23, s25, s23
	s_mul_hi_u32 s26, s21, s22
	s_addc_u32 s23, s24, s27
	s_addc_u32 s24, s26, 0
	s_mul_i32 s22, s21, s22
	s_add_u32 s26, s23, s22
	s_addc_u32 s27, 0, s24
	s_mul_i32 s22, s18, s27
	s_mul_hi_u32 s23, s18, s26
	s_add_i32 s22, s23, s22
	s_mul_i32 s23, s19, s26
	s_add_i32 s28, s22, s23
	s_sub_i32 s24, s21, s28
	s_mul_i32 s22, s18, s26
	s_sub_u32 s20, s20, s22
	s_cselect_b64 s[22:23], -1, 0
	s_cmp_lg_u64 s[22:23], 0
	s_subb_u32 s29, s24, s19
	s_sub_u32 s30, s20, s18
	s_cselect_b64 s[24:25], -1, 0
	s_cmp_lg_u64 s[24:25], 0
	s_subb_u32 s24, s29, 0
	s_cmp_ge_u32 s24, s19
	s_cselect_b32 s25, -1, 0
	s_cmp_ge_u32 s30, s18
	s_cselect_b32 s29, -1, 0
	s_cmp_eq_u32 s24, s19
	s_cselect_b32 s24, s29, s25
	s_add_u32 s25, s26, 1
	s_addc_u32 s29, s27, 0
	s_add_u32 s30, s26, 2
	s_addc_u32 s31, s27, 0
	s_cmp_lg_u32 s24, 0
	s_cselect_b32 s24, s30, s25
	s_cselect_b32 s25, s31, s29
	s_cmp_lg_u64 s[22:23], 0
	s_subb_u32 s21, s21, s28
	s_cmp_ge_u32 s21, s19
	s_cselect_b32 s22, -1, 0
	s_cmp_ge_u32 s20, s18
	s_cselect_b32 s18, -1, 0
	s_cmp_eq_u32 s21, s19
	s_cselect_b32 s18, s18, s22
	s_cmp_lg_u32 s18, 0
	s_cselect_b32 s19, s25, s27
	s_cselect_b32 s18, s24, s26
	s_xor_b64 s[12:13], 0, s[12:13]
	s_xor_b64 s[18:19], s[18:19], s[12:13]
	s_sub_u32 s18, s18, s12
	s_subb_u32 s19, s19, s13
	s_cbranch_execnz .LBB7_3
.LBB7_2:
	v_cvt_f32_u32_e32 v1, s8
	s_sub_i32 s12, 0, s8
	s_mov_b32 s19, 0
	v_rcp_iflag_f32_e32 v1, v1
	s_nop 0
	v_mul_f32_e32 v1, 0x4f7ffffe, v1
	v_cvt_u32_f32_e32 v1, v1
	s_nop 0
	v_readfirstlane_b32 s13, v1
	s_mul_i32 s12, s12, s13
	s_mul_hi_u32 s12, s13, s12
	s_add_i32 s13, s13, s12
	s_mul_hi_u32 s12, s2, s13
	s_mul_i32 s14, s12, s8
	s_sub_i32 s14, s2, s14
	s_add_i32 s13, s12, 1
	s_sub_i32 s15, s14, s8
	s_cmp_ge_u32 s14, s8
	s_cselect_b32 s12, s13, s12
	s_cselect_b32 s14, s15, s14
	s_add_i32 s13, s12, 1
	s_cmp_ge_u32 s14, s8
	s_cselect_b32 s18, s13, s12
.LBB7_3:
	s_mul_i32 s9, s18, s9
	s_mul_hi_u32 s12, s18, s8
	s_add_i32 s9, s12, s9
	s_mul_i32 s12, s19, s8
	s_add_i32 s9, s9, s12
	s_mul_i32 s8, s18, s8
	s_sub_u32 s8, s2, s8
	s_subb_u32 s9, 0, s9
	s_or_b64 s[12:13], s[8:9], s[4:5]
	s_mov_b32 s12, 0
	s_cmp_lg_u64 s[12:13], 0
	s_cbranch_scc0 .LBB7_20
; %bb.4:
	s_ashr_i32 s12, s5, 31
	s_add_u32 s14, s4, s12
	s_mov_b32 s13, s12
	s_addc_u32 s15, s5, s12
	s_xor_b64 s[20:21], s[14:15], s[12:13]
	v_cvt_f32_u32_e32 v1, s20
	v_cvt_f32_u32_e32 v2, s21
	s_sub_u32 s24, 0, s20
	s_subb_u32 s25, 0, s21
	v_fmamk_f32 v1, v2, 0x4f800000, v1
	v_rcp_f32_e32 v1, v1
	s_nop 0
	v_mul_f32_e32 v1, 0x5f7ffffc, v1
	v_mul_f32_e32 v2, 0x2f800000, v1
	v_trunc_f32_e32 v2, v2
	v_fmamk_f32 v1, v2, 0xcf800000, v1
	v_cvt_u32_f32_e32 v2, v2
	v_cvt_u32_f32_e32 v1, v1
	v_readfirstlane_b32 s26, v2
	v_readfirstlane_b32 s22, v1
	s_mul_i32 s23, s24, s26
	s_mul_hi_u32 s28, s24, s22
	s_mul_i32 s27, s25, s22
	s_add_i32 s23, s28, s23
	s_add_i32 s23, s23, s27
	s_mul_i32 s29, s24, s22
	s_mul_i32 s28, s22, s23
	s_mul_hi_u32 s30, s22, s29
	s_mul_hi_u32 s27, s22, s23
	s_add_u32 s28, s30, s28
	s_addc_u32 s27, 0, s27
	s_mul_hi_u32 s31, s26, s29
	s_mul_i32 s29, s26, s29
	s_add_u32 s28, s28, s29
	s_mul_hi_u32 s30, s26, s23
	s_addc_u32 s27, s27, s31
	s_addc_u32 s28, s30, 0
	s_mul_i32 s23, s26, s23
	s_add_u32 s23, s27, s23
	s_addc_u32 s27, 0, s28
	s_add_u32 s28, s22, s23
	s_cselect_b64 s[22:23], -1, 0
	s_cmp_lg_u64 s[22:23], 0
	s_addc_u32 s26, s26, s27
	s_mul_i32 s22, s24, s26
	s_mul_hi_u32 s23, s24, s28
	s_add_i32 s22, s23, s22
	s_mul_i32 s25, s25, s28
	s_add_i32 s22, s22, s25
	s_mul_i32 s24, s24, s28
	s_mul_hi_u32 s25, s26, s24
	s_mul_i32 s27, s26, s24
	s_mul_i32 s30, s28, s22
	s_mul_hi_u32 s24, s28, s24
	s_mul_hi_u32 s29, s28, s22
	s_add_u32 s24, s24, s30
	s_addc_u32 s29, 0, s29
	s_add_u32 s24, s24, s27
	s_mul_hi_u32 s23, s26, s22
	s_addc_u32 s24, s29, s25
	s_addc_u32 s23, s23, 0
	s_mul_i32 s22, s26, s22
	s_add_u32 s22, s24, s22
	s_addc_u32 s24, 0, s23
	s_add_u32 s27, s28, s22
	s_cselect_b64 s[22:23], -1, 0
	s_cmp_lg_u64 s[22:23], 0
	s_addc_u32 s26, s26, s24
	s_ashr_i32 s22, s9, 31
	s_add_u32 s24, s8, s22
	s_mov_b32 s23, s22
	s_addc_u32 s25, s9, s22
	s_xor_b64 s[24:25], s[24:25], s[22:23]
	s_mul_i32 s29, s24, s26
	s_mul_hi_u32 s30, s24, s27
	s_mul_hi_u32 s28, s24, s26
	s_add_u32 s29, s30, s29
	s_addc_u32 s28, 0, s28
	s_mul_hi_u32 s31, s25, s27
	s_mul_i32 s27, s25, s27
	s_add_u32 s27, s29, s27
	s_mul_hi_u32 s30, s25, s26
	s_addc_u32 s27, s28, s31
	s_addc_u32 s28, s30, 0
	s_mul_i32 s26, s25, s26
	s_add_u32 s30, s27, s26
	s_addc_u32 s31, 0, s28
	s_mul_i32 s26, s20, s31
	s_mul_hi_u32 s27, s20, s30
	s_add_i32 s26, s27, s26
	s_mul_i32 s27, s21, s30
	s_add_i32 s33, s26, s27
	s_sub_i32 s28, s25, s33
	s_mul_i32 s26, s20, s30
	s_sub_u32 s24, s24, s26
	s_cselect_b64 s[26:27], -1, 0
	s_cmp_lg_u64 s[26:27], 0
	s_subb_u32 s34, s28, s21
	s_sub_u32 s35, s24, s20
	s_cselect_b64 s[28:29], -1, 0
	s_cmp_lg_u64 s[28:29], 0
	s_subb_u32 s28, s34, 0
	s_cmp_ge_u32 s28, s21
	s_cselect_b32 s29, -1, 0
	s_cmp_ge_u32 s35, s20
	s_cselect_b32 s34, -1, 0
	s_cmp_eq_u32 s28, s21
	s_cselect_b32 s28, s34, s29
	s_add_u32 s29, s30, 1
	s_addc_u32 s34, s31, 0
	s_add_u32 s35, s30, 2
	s_addc_u32 s36, s31, 0
	s_cmp_lg_u32 s28, 0
	s_cselect_b32 s28, s35, s29
	s_cselect_b32 s29, s36, s34
	s_cmp_lg_u64 s[26:27], 0
	s_subb_u32 s25, s25, s33
	s_cmp_ge_u32 s25, s21
	s_cselect_b32 s26, -1, 0
	s_cmp_ge_u32 s24, s20
	s_cselect_b32 s20, -1, 0
	s_cmp_eq_u32 s25, s21
	s_cselect_b32 s20, s20, s26
	s_cmp_lg_u32 s20, 0
	s_cselect_b32 s21, s29, s31
	s_cselect_b32 s20, s28, s30
	s_xor_b64 s[12:13], s[22:23], s[12:13]
	s_xor_b64 s[20:21], s[20:21], s[12:13]
	s_sub_u32 s20, s20, s12
	s_subb_u32 s21, s21, s13
	s_cbranch_execnz .LBB7_6
.LBB7_5:
	v_cvt_f32_u32_e32 v1, s4
	s_sub_i32 s12, 0, s4
	s_mov_b32 s21, 0
	v_rcp_iflag_f32_e32 v1, v1
	s_nop 0
	v_mul_f32_e32 v1, 0x4f7ffffe, v1
	v_cvt_u32_f32_e32 v1, v1
	s_nop 0
	v_readfirstlane_b32 s13, v1
	s_mul_i32 s12, s12, s13
	s_mul_hi_u32 s12, s13, s12
	s_add_i32 s13, s13, s12
	s_mul_hi_u32 s12, s8, s13
	s_mul_i32 s14, s12, s4
	s_sub_i32 s14, s8, s14
	s_add_i32 s13, s12, 1
	s_sub_i32 s15, s14, s4
	s_cmp_ge_u32 s14, s4
	s_cselect_b32 s12, s13, s12
	s_cselect_b32 s14, s15, s14
	s_add_i32 s13, s12, 1
	s_cmp_ge_u32 s14, s4
	s_cselect_b32 s20, s13, s12
.LBB7_6:
	s_load_dwordx4 s[12:15], s[0:1], 0x0
	s_load_dwordx2 s[24:25], s[0:1], 0x10
	s_load_dword s26, s[0:1], 0x54
	v_mov_b32_e32 v1, 0
	v_cmp_gt_i64_e32 vcc, s[6:7], v[0:1]
	s_and_saveexec_b64 s[0:1], vcc
	s_cbranch_execz .LBB7_10
; %bb.7:
	s_mul_i32 s11, s18, s11
	s_mul_hi_u32 s22, s18, s10
	s_add_i32 s11, s22, s11
	s_mul_i32 s22, s19, s10
	s_add_i32 s11, s11, s22
	s_mul_i32 s10, s18, s10
	s_lshl_b64 s[10:11], s[10:11], 2
	s_waitcnt lgkmcnt(0)
	s_add_u32 s14, s14, s10
	s_addc_u32 s15, s15, s11
	s_mul_i32 s10, s20, s7
	s_mul_hi_u32 s11, s20, s6
	s_add_i32 s10, s11, s10
	s_mul_i32 s11, s21, s6
	s_add_i32 s11, s10, s11
	s_mul_i32 s10, s20, s6
	s_lshl_b64 s[10:11], s[10:11], 2
	s_add_u32 s10, s14, s10
	s_addc_u32 s11, s15, s11
	s_lshl_b64 s[14:15], s[6:7], 2
	s_add_u32 s14, s10, s14
	s_mul_i32 s17, s18, s17
	s_mul_hi_u32 s22, s18, s16
	s_addc_u32 s15, s11, s15
	s_add_i32 s17, s22, s17
	s_mul_i32 s19, s19, s16
	s_add_i32 s17, s17, s19
	s_mul_i32 s16, s18, s16
	s_lshl_b64 s[16:17], s[16:17], 2
	s_add_u32 s16, s24, s16
	s_mul_i32 s5, s20, s5
	s_mul_hi_u32 s18, s20, s4
	s_addc_u32 s17, s25, s17
	s_add_i32 s5, s18, s5
	s_mul_i32 s18, s21, s4
	s_add_i32 s5, s5, s18
	s_mul_i32 s4, s20, s4
	s_sub_u32 s4, s8, s4
	s_subb_u32 s5, s9, s5
	s_mul_i32 s7, s4, s7
	s_mul_hi_u32 s8, s4, s6
	s_add_i32 s7, s8, s7
	s_mul_i32 s5, s5, s6
	s_add_i32 s5, s7, s5
	s_mul_i32 s4, s4, s6
	s_lshl_b64 s[4:5], s[4:5], 2
	s_add_u32 s4, s16, s4
	v_lshlrev_b32_e32 v2, 2, v0
	s_mov_b32 s23, 0
	v_mov_b32_e32 v3, 0
	s_addc_u32 s5, s17, s5
	s_and_b32 s8, s26, 0xffff
	v_lshl_add_u64 v[4:5], s[10:11], 0, v[2:3]
	s_lshl_b32 s22, s8, 2
	s_mov_b64 s[6:7], 0
	s_lshl_b32 s8, s8, 2
	s_mov_b32 s9, s23
	v_mov_b32_e32 v1, v3
.LBB7_8:                                ; =>This Inner Loop Header: Depth=1
	v_lshl_add_u64 v[8:9], s[10:11], 0, v[2:3]
	v_lshl_add_u64 v[6:7], s[4:5], 0, v[2:3]
	global_load_dword v10, v[8:9], off
	global_load_dword v11, v[6:7], off
	v_lshl_add_u64 v[4:5], v[4:5], 0, s[8:9]
	v_cmp_le_u64_e32 vcc, s[14:15], v[4:5]
	v_lshl_add_u64 v[2:3], v[2:3], 0, s[22:23]
	s_or_b64 s[6:7], vcc, s[6:7]
	s_waitcnt vmcnt(0)
	v_sub_f32_e32 v6, v10, v11
	v_add_f32_e64 v1, v1, |v6|
	s_andn2_b64 exec, exec, s[6:7]
	s_cbranch_execnz .LBB7_8
; %bb.9:
	s_or_b64 exec, exec, s[6:7]
.LBB7_10:
	s_or_b64 exec, exec, s[0:1]
	v_mbcnt_lo_u32_b32 v2, -1, 0
	v_mbcnt_hi_u32_b32 v6, -1, v2
	v_mov_b32_e32 v2, 0x80
	v_lshl_or_b32 v2, v6, 2, v2
	ds_bpermute_b32 v3, v2, v1
	v_and_b32_e32 v7, 63, v6
	v_cmp_gt_u32_e32 vcc, 48, v7
	s_waitcnt lgkmcnt(0)
	s_barrier
	v_cndmask_b32_e64 v4, 0, 16, vcc
	v_add_f32_e32 v5, v1, v3
	v_add_lshl_u32 v1, v4, v6, 2
	ds_bpermute_b32 v4, v1, v5
	v_cmp_gt_u32_e32 vcc, 56, v7
	s_waitcnt lgkmcnt(0)
	v_add_f32_e32 v5, v5, v4
	v_cndmask_b32_e64 v3, 0, 8, vcc
	v_add_lshl_u32 v3, v3, v6, 2
	ds_bpermute_b32 v8, v3, v5
	v_cmp_gt_u32_e32 vcc, 60, v7
	s_waitcnt lgkmcnt(0)
	v_add_f32_e32 v8, v5, v8
	v_cndmask_b32_e64 v4, 0, 4, vcc
	;; [unrolled: 6-line block ×3, first 2 shown]
	v_add_lshl_u32 v5, v5, v6, 2
	ds_bpermute_b32 v10, v5, v9
	v_cmp_ne_u32_e32 vcc, 63, v7
	v_and_b32_e32 v8, 63, v0
	s_waitcnt lgkmcnt(0)
	v_add_f32_e32 v7, v9, v10
	v_addc_co_u32_e32 v6, vcc, 0, v6, vcc
	v_lshlrev_b32_e32 v6, 2, v6
	ds_bpermute_b32 v9, v6, v7
	v_cmp_eq_u32_e32 vcc, 0, v8
	s_and_saveexec_b64 s[0:1], vcc
	s_cbranch_execz .LBB7_12
; %bb.11:
	s_waitcnt lgkmcnt(0)
	v_add_f32_e32 v7, v7, v9
	v_lshrrev_b32_e32 v9, 4, v0
	ds_write_b32 v9, v7
.LBB7_12:
	s_or_b64 exec, exec, s[0:1]
	s_and_b32 s0, 0xffff, s26
	s_lshr_b32 s0, s0, 6
	v_cmp_gt_u32_e32 vcc, s0, v0
	v_mov_b32_e32 v7, 0
	s_waitcnt lgkmcnt(0)
	s_barrier
	s_and_saveexec_b64 s[0:1], vcc
	s_cbranch_execnz .LBB7_16
; %bb.13:
	s_or_b64 exec, exec, s[0:1]
	v_cmp_gt_u32_e32 vcc, 64, v0
	s_and_saveexec_b64 s[0:1], vcc
	s_cbranch_execnz .LBB7_17
.LBB7_14:
	s_or_b64 exec, exec, s[0:1]
	v_cmp_eq_u32_e32 vcc, 0, v0
	s_and_saveexec_b64 s[0:1], vcc
	s_cbranch_execnz .LBB7_18
.LBB7_15:
	s_endpgm
.LBB7_16:
	v_lshlrev_b32_e32 v7, 2, v8
	ds_read_b32 v7, v7
	s_or_b64 exec, exec, s[0:1]
	v_cmp_gt_u32_e32 vcc, 64, v0
	s_and_saveexec_b64 s[0:1], vcc
	s_cbranch_execz .LBB7_14
.LBB7_17:
	s_waitcnt lgkmcnt(0)
	ds_bpermute_b32 v2, v2, v7
	s_waitcnt lgkmcnt(0)
	v_add_f32_e32 v2, v7, v2
	ds_bpermute_b32 v1, v1, v2
	s_waitcnt lgkmcnt(0)
	v_add_f32_e32 v1, v2, v1
	;; [unrolled: 3-line block ×6, first 2 shown]
	s_or_b64 exec, exec, s[0:1]
	v_cmp_eq_u32_e32 vcc, 0, v0
	s_and_saveexec_b64 s[0:1], vcc
	s_cbranch_execz .LBB7_15
.LBB7_18:
	s_lshl_b64 s[0:1], s[2:3], 2
	s_add_u32 s0, s12, s0
	s_addc_u32 s1, s13, s1
	v_mov_b32_e32 v0, 0
	s_waitcnt lgkmcnt(0)
	global_store_dword v0, v7, s[0:1]
	s_endpgm
.LBB7_19:
                                        ; implicit-def: $sgpr18_sgpr19
	s_branch .LBB7_2
.LBB7_20:
                                        ; implicit-def: $sgpr20_sgpr21
	s_branch .LBB7_5
	.section	.rodata,"a",@progbits
	.p2align	6, 0x0
	.amdhsa_kernel _ZN2at6native12_GLOBAL__N_122cdist_kernel_cuda_implIfNS1_5distsIfE3oneEEEvPT_PKS6_S9_S6_lllll
		.amdhsa_group_segment_fixed_size 1024
		.amdhsa_private_segment_fixed_size 0
		.amdhsa_kernarg_size 328
		.amdhsa_user_sgpr_count 2
		.amdhsa_user_sgpr_dispatch_ptr 0
		.amdhsa_user_sgpr_queue_ptr 0
		.amdhsa_user_sgpr_kernarg_segment_ptr 1
		.amdhsa_user_sgpr_dispatch_id 0
		.amdhsa_user_sgpr_kernarg_preload_length 0
		.amdhsa_user_sgpr_kernarg_preload_offset 0
		.amdhsa_user_sgpr_private_segment_size 0
		.amdhsa_uses_dynamic_stack 0
		.amdhsa_enable_private_segment 0
		.amdhsa_system_sgpr_workgroup_id_x 1
		.amdhsa_system_sgpr_workgroup_id_y 0
		.amdhsa_system_sgpr_workgroup_id_z 0
		.amdhsa_system_sgpr_workgroup_info 0
		.amdhsa_system_vgpr_workitem_id 0
		.amdhsa_next_free_vgpr 12
		.amdhsa_next_free_sgpr 37
		.amdhsa_accum_offset 12
		.amdhsa_reserve_vcc 1
		.amdhsa_float_round_mode_32 0
		.amdhsa_float_round_mode_16_64 0
		.amdhsa_float_denorm_mode_32 3
		.amdhsa_float_denorm_mode_16_64 3
		.amdhsa_dx10_clamp 1
		.amdhsa_ieee_mode 1
		.amdhsa_fp16_overflow 0
		.amdhsa_tg_split 0
		.amdhsa_exception_fp_ieee_invalid_op 0
		.amdhsa_exception_fp_denorm_src 0
		.amdhsa_exception_fp_ieee_div_zero 0
		.amdhsa_exception_fp_ieee_overflow 0
		.amdhsa_exception_fp_ieee_underflow 0
		.amdhsa_exception_fp_ieee_inexact 0
		.amdhsa_exception_int_div_zero 0
	.end_amdhsa_kernel
	.section	.text._ZN2at6native12_GLOBAL__N_122cdist_kernel_cuda_implIfNS1_5distsIfE3oneEEEvPT_PKS6_S9_S6_lllll,"axG",@progbits,_ZN2at6native12_GLOBAL__N_122cdist_kernel_cuda_implIfNS1_5distsIfE3oneEEEvPT_PKS6_S9_S6_lllll,comdat
.Lfunc_end7:
	.size	_ZN2at6native12_GLOBAL__N_122cdist_kernel_cuda_implIfNS1_5distsIfE3oneEEEvPT_PKS6_S9_S6_lllll, .Lfunc_end7-_ZN2at6native12_GLOBAL__N_122cdist_kernel_cuda_implIfNS1_5distsIfE3oneEEEvPT_PKS6_S9_S6_lllll
                                        ; -- End function
	.set _ZN2at6native12_GLOBAL__N_122cdist_kernel_cuda_implIfNS1_5distsIfE3oneEEEvPT_PKS6_S9_S6_lllll.num_vgpr, 12
	.set _ZN2at6native12_GLOBAL__N_122cdist_kernel_cuda_implIfNS1_5distsIfE3oneEEEvPT_PKS6_S9_S6_lllll.num_agpr, 0
	.set _ZN2at6native12_GLOBAL__N_122cdist_kernel_cuda_implIfNS1_5distsIfE3oneEEEvPT_PKS6_S9_S6_lllll.numbered_sgpr, 37
	.set _ZN2at6native12_GLOBAL__N_122cdist_kernel_cuda_implIfNS1_5distsIfE3oneEEEvPT_PKS6_S9_S6_lllll.num_named_barrier, 0
	.set _ZN2at6native12_GLOBAL__N_122cdist_kernel_cuda_implIfNS1_5distsIfE3oneEEEvPT_PKS6_S9_S6_lllll.private_seg_size, 0
	.set _ZN2at6native12_GLOBAL__N_122cdist_kernel_cuda_implIfNS1_5distsIfE3oneEEEvPT_PKS6_S9_S6_lllll.uses_vcc, 1
	.set _ZN2at6native12_GLOBAL__N_122cdist_kernel_cuda_implIfNS1_5distsIfE3oneEEEvPT_PKS6_S9_S6_lllll.uses_flat_scratch, 0
	.set _ZN2at6native12_GLOBAL__N_122cdist_kernel_cuda_implIfNS1_5distsIfE3oneEEEvPT_PKS6_S9_S6_lllll.has_dyn_sized_stack, 0
	.set _ZN2at6native12_GLOBAL__N_122cdist_kernel_cuda_implIfNS1_5distsIfE3oneEEEvPT_PKS6_S9_S6_lllll.has_recursion, 0
	.set _ZN2at6native12_GLOBAL__N_122cdist_kernel_cuda_implIfNS1_5distsIfE3oneEEEvPT_PKS6_S9_S6_lllll.has_indirect_call, 0
	.section	.AMDGPU.csdata,"",@progbits
; Kernel info:
; codeLenInByte = 2236
; TotalNumSgprs: 43
; NumVgprs: 12
; NumAgprs: 0
; TotalNumVgprs: 12
; ScratchSize: 0
; MemoryBound: 0
; FloatMode: 240
; IeeeMode: 1
; LDSByteSize: 1024 bytes/workgroup (compile time only)
; SGPRBlocks: 5
; VGPRBlocks: 1
; NumSGPRsForWavesPerEU: 43
; NumVGPRsForWavesPerEU: 12
; AccumOffset: 12
; Occupancy: 8
; WaveLimiterHint : 0
; COMPUTE_PGM_RSRC2:SCRATCH_EN: 0
; COMPUTE_PGM_RSRC2:USER_SGPR: 2
; COMPUTE_PGM_RSRC2:TRAP_HANDLER: 0
; COMPUTE_PGM_RSRC2:TGID_X_EN: 1
; COMPUTE_PGM_RSRC2:TGID_Y_EN: 0
; COMPUTE_PGM_RSRC2:TGID_Z_EN: 0
; COMPUTE_PGM_RSRC2:TIDIG_COMP_CNT: 0
; COMPUTE_PGM_RSRC3_GFX90A:ACCUM_OFFSET: 2
; COMPUTE_PGM_RSRC3_GFX90A:TG_SPLIT: 0
	.section	.text._ZN2at6native12_GLOBAL__N_122cdist_kernel_cuda_implIfNS1_5distsIfE3twoEEEvPT_PKS6_S9_S6_lllll,"axG",@progbits,_ZN2at6native12_GLOBAL__N_122cdist_kernel_cuda_implIfNS1_5distsIfE3twoEEEvPT_PKS6_S9_S6_lllll,comdat
	.globl	_ZN2at6native12_GLOBAL__N_122cdist_kernel_cuda_implIfNS1_5distsIfE3twoEEEvPT_PKS6_S9_S6_lllll ; -- Begin function _ZN2at6native12_GLOBAL__N_122cdist_kernel_cuda_implIfNS1_5distsIfE3twoEEEvPT_PKS6_S9_S6_lllll
	.p2align	8
	.type	_ZN2at6native12_GLOBAL__N_122cdist_kernel_cuda_implIfNS1_5distsIfE3twoEEEvPT_PKS6_S9_S6_lllll,@function
_ZN2at6native12_GLOBAL__N_122cdist_kernel_cuda_implIfNS1_5distsIfE3twoEEEvPT_PKS6_S9_S6_lllll: ; @_ZN2at6native12_GLOBAL__N_122cdist_kernel_cuda_implIfNS1_5distsIfE3twoEEEvPT_PKS6_S9_S6_lllll
; %bb.0:
	s_load_dwordx8 s[4:11], s[0:1], 0x20
	s_load_dwordx2 s[16:17], s[0:1], 0x40
	s_mov_b32 s3, 0
	s_mov_b32 s12, s3
	s_waitcnt lgkmcnt(0)
	s_mov_b32 s13, s9
	s_cmp_lg_u64 s[12:13], 0
	s_cbranch_scc0 .LBB8_19
; %bb.1:
	s_ashr_i32 s12, s9, 31
	s_add_u32 s14, s8, s12
	s_mov_b32 s13, s12
	s_addc_u32 s15, s9, s12
	s_xor_b64 s[18:19], s[14:15], s[12:13]
	v_cvt_f32_u32_e32 v1, s18
	v_cvt_f32_u32_e32 v2, s19
	s_sub_u32 s22, 0, s18
	s_subb_u32 s23, 0, s19
	v_fmamk_f32 v1, v2, 0x4f800000, v1
	v_rcp_f32_e32 v1, v1
	s_nop 0
	v_mul_f32_e32 v1, 0x5f7ffffc, v1
	v_mul_f32_e32 v2, 0x2f800000, v1
	v_trunc_f32_e32 v2, v2
	v_fmamk_f32 v1, v2, 0xcf800000, v1
	v_cvt_u32_f32_e32 v2, v2
	v_cvt_u32_f32_e32 v1, v1
	v_readfirstlane_b32 s24, v2
	v_readfirstlane_b32 s20, v1
	s_mul_i32 s21, s22, s24
	s_mul_hi_u32 s26, s22, s20
	s_mul_i32 s25, s23, s20
	s_add_i32 s21, s26, s21
	s_add_i32 s21, s21, s25
	s_mul_i32 s27, s22, s20
	s_mul_i32 s26, s20, s21
	s_mul_hi_u32 s28, s20, s27
	s_mul_hi_u32 s25, s20, s21
	s_add_u32 s26, s28, s26
	s_addc_u32 s25, 0, s25
	s_mul_hi_u32 s29, s24, s27
	s_mul_i32 s27, s24, s27
	s_add_u32 s26, s26, s27
	s_mul_hi_u32 s28, s24, s21
	s_addc_u32 s25, s25, s29
	s_addc_u32 s26, s28, 0
	s_mul_i32 s21, s24, s21
	s_add_u32 s21, s25, s21
	s_addc_u32 s25, 0, s26
	s_add_u32 s26, s20, s21
	s_cselect_b64 s[20:21], -1, 0
	s_cmp_lg_u64 s[20:21], 0
	s_addc_u32 s24, s24, s25
	s_mul_i32 s20, s22, s24
	s_mul_hi_u32 s21, s22, s26
	s_add_i32 s20, s21, s20
	s_mul_i32 s23, s23, s26
	s_add_i32 s20, s20, s23
	s_mul_i32 s22, s22, s26
	s_mul_hi_u32 s23, s24, s22
	s_mul_i32 s25, s24, s22
	s_mul_i32 s28, s26, s20
	s_mul_hi_u32 s22, s26, s22
	s_mul_hi_u32 s27, s26, s20
	s_add_u32 s22, s22, s28
	s_addc_u32 s27, 0, s27
	s_add_u32 s22, s22, s25
	s_mul_hi_u32 s21, s24, s20
	s_addc_u32 s22, s27, s23
	s_addc_u32 s21, s21, 0
	s_mul_i32 s20, s24, s20
	s_add_u32 s20, s22, s20
	s_addc_u32 s22, 0, s21
	s_add_u32 s23, s26, s20
	s_cselect_b64 s[20:21], -1, 0
	s_cmp_lg_u64 s[20:21], 0
	s_addc_u32 s22, s24, s22
	s_add_u32 s20, s2, 0
	s_addc_u32 s21, 0, 0
	s_xor_b64 s[20:21], s[20:21], 0
	s_mul_i32 s25, s20, s22
	s_mul_hi_u32 s26, s20, s23
	s_mul_hi_u32 s24, s20, s22
	s_add_u32 s25, s26, s25
	s_addc_u32 s24, 0, s24
	s_mul_hi_u32 s27, s21, s23
	s_mul_i32 s23, s21, s23
	s_add_u32 s23, s25, s23
	s_mul_hi_u32 s26, s21, s22
	s_addc_u32 s23, s24, s27
	s_addc_u32 s24, s26, 0
	s_mul_i32 s22, s21, s22
	s_add_u32 s26, s23, s22
	s_addc_u32 s27, 0, s24
	s_mul_i32 s22, s18, s27
	s_mul_hi_u32 s23, s18, s26
	s_add_i32 s22, s23, s22
	s_mul_i32 s23, s19, s26
	s_add_i32 s28, s22, s23
	s_sub_i32 s24, s21, s28
	s_mul_i32 s22, s18, s26
	s_sub_u32 s20, s20, s22
	s_cselect_b64 s[22:23], -1, 0
	s_cmp_lg_u64 s[22:23], 0
	s_subb_u32 s29, s24, s19
	s_sub_u32 s30, s20, s18
	s_cselect_b64 s[24:25], -1, 0
	s_cmp_lg_u64 s[24:25], 0
	s_subb_u32 s24, s29, 0
	s_cmp_ge_u32 s24, s19
	s_cselect_b32 s25, -1, 0
	s_cmp_ge_u32 s30, s18
	s_cselect_b32 s29, -1, 0
	s_cmp_eq_u32 s24, s19
	s_cselect_b32 s24, s29, s25
	s_add_u32 s25, s26, 1
	s_addc_u32 s29, s27, 0
	s_add_u32 s30, s26, 2
	s_addc_u32 s31, s27, 0
	s_cmp_lg_u32 s24, 0
	s_cselect_b32 s24, s30, s25
	s_cselect_b32 s25, s31, s29
	s_cmp_lg_u64 s[22:23], 0
	s_subb_u32 s21, s21, s28
	s_cmp_ge_u32 s21, s19
	s_cselect_b32 s22, -1, 0
	s_cmp_ge_u32 s20, s18
	s_cselect_b32 s18, -1, 0
	s_cmp_eq_u32 s21, s19
	s_cselect_b32 s18, s18, s22
	s_cmp_lg_u32 s18, 0
	s_cselect_b32 s19, s25, s27
	s_cselect_b32 s18, s24, s26
	s_xor_b64 s[12:13], 0, s[12:13]
	s_xor_b64 s[18:19], s[18:19], s[12:13]
	s_sub_u32 s18, s18, s12
	s_subb_u32 s19, s19, s13
	s_cbranch_execnz .LBB8_3
.LBB8_2:
	v_cvt_f32_u32_e32 v1, s8
	s_sub_i32 s12, 0, s8
	s_mov_b32 s19, 0
	v_rcp_iflag_f32_e32 v1, v1
	s_nop 0
	v_mul_f32_e32 v1, 0x4f7ffffe, v1
	v_cvt_u32_f32_e32 v1, v1
	s_nop 0
	v_readfirstlane_b32 s13, v1
	s_mul_i32 s12, s12, s13
	s_mul_hi_u32 s12, s13, s12
	s_add_i32 s13, s13, s12
	s_mul_hi_u32 s12, s2, s13
	s_mul_i32 s14, s12, s8
	s_sub_i32 s14, s2, s14
	s_add_i32 s13, s12, 1
	s_sub_i32 s15, s14, s8
	s_cmp_ge_u32 s14, s8
	s_cselect_b32 s12, s13, s12
	s_cselect_b32 s14, s15, s14
	s_add_i32 s13, s12, 1
	s_cmp_ge_u32 s14, s8
	s_cselect_b32 s18, s13, s12
.LBB8_3:
	s_mul_i32 s9, s18, s9
	s_mul_hi_u32 s12, s18, s8
	s_add_i32 s9, s12, s9
	s_mul_i32 s12, s19, s8
	s_add_i32 s9, s9, s12
	s_mul_i32 s8, s18, s8
	s_sub_u32 s8, s2, s8
	s_subb_u32 s9, 0, s9
	s_or_b64 s[12:13], s[8:9], s[4:5]
	s_mov_b32 s12, 0
	s_cmp_lg_u64 s[12:13], 0
	s_cbranch_scc0 .LBB8_20
; %bb.4:
	s_ashr_i32 s12, s5, 31
	s_add_u32 s14, s4, s12
	s_mov_b32 s13, s12
	s_addc_u32 s15, s5, s12
	s_xor_b64 s[20:21], s[14:15], s[12:13]
	v_cvt_f32_u32_e32 v1, s20
	v_cvt_f32_u32_e32 v2, s21
	s_sub_u32 s24, 0, s20
	s_subb_u32 s25, 0, s21
	v_fmamk_f32 v1, v2, 0x4f800000, v1
	v_rcp_f32_e32 v1, v1
	s_nop 0
	v_mul_f32_e32 v1, 0x5f7ffffc, v1
	v_mul_f32_e32 v2, 0x2f800000, v1
	v_trunc_f32_e32 v2, v2
	v_fmamk_f32 v1, v2, 0xcf800000, v1
	v_cvt_u32_f32_e32 v2, v2
	v_cvt_u32_f32_e32 v1, v1
	v_readfirstlane_b32 s26, v2
	v_readfirstlane_b32 s22, v1
	s_mul_i32 s23, s24, s26
	s_mul_hi_u32 s28, s24, s22
	s_mul_i32 s27, s25, s22
	s_add_i32 s23, s28, s23
	s_add_i32 s23, s23, s27
	s_mul_i32 s29, s24, s22
	s_mul_i32 s28, s22, s23
	s_mul_hi_u32 s30, s22, s29
	s_mul_hi_u32 s27, s22, s23
	s_add_u32 s28, s30, s28
	s_addc_u32 s27, 0, s27
	s_mul_hi_u32 s31, s26, s29
	s_mul_i32 s29, s26, s29
	s_add_u32 s28, s28, s29
	s_mul_hi_u32 s30, s26, s23
	s_addc_u32 s27, s27, s31
	s_addc_u32 s28, s30, 0
	s_mul_i32 s23, s26, s23
	s_add_u32 s23, s27, s23
	s_addc_u32 s27, 0, s28
	s_add_u32 s28, s22, s23
	s_cselect_b64 s[22:23], -1, 0
	s_cmp_lg_u64 s[22:23], 0
	s_addc_u32 s26, s26, s27
	s_mul_i32 s22, s24, s26
	s_mul_hi_u32 s23, s24, s28
	s_add_i32 s22, s23, s22
	s_mul_i32 s25, s25, s28
	s_add_i32 s22, s22, s25
	s_mul_i32 s24, s24, s28
	s_mul_hi_u32 s25, s26, s24
	s_mul_i32 s27, s26, s24
	s_mul_i32 s30, s28, s22
	s_mul_hi_u32 s24, s28, s24
	s_mul_hi_u32 s29, s28, s22
	s_add_u32 s24, s24, s30
	s_addc_u32 s29, 0, s29
	s_add_u32 s24, s24, s27
	s_mul_hi_u32 s23, s26, s22
	s_addc_u32 s24, s29, s25
	s_addc_u32 s23, s23, 0
	s_mul_i32 s22, s26, s22
	s_add_u32 s22, s24, s22
	s_addc_u32 s24, 0, s23
	s_add_u32 s27, s28, s22
	s_cselect_b64 s[22:23], -1, 0
	s_cmp_lg_u64 s[22:23], 0
	s_addc_u32 s26, s26, s24
	s_ashr_i32 s22, s9, 31
	s_add_u32 s24, s8, s22
	s_mov_b32 s23, s22
	s_addc_u32 s25, s9, s22
	s_xor_b64 s[24:25], s[24:25], s[22:23]
	s_mul_i32 s29, s24, s26
	s_mul_hi_u32 s30, s24, s27
	s_mul_hi_u32 s28, s24, s26
	s_add_u32 s29, s30, s29
	s_addc_u32 s28, 0, s28
	s_mul_hi_u32 s31, s25, s27
	s_mul_i32 s27, s25, s27
	s_add_u32 s27, s29, s27
	s_mul_hi_u32 s30, s25, s26
	s_addc_u32 s27, s28, s31
	s_addc_u32 s28, s30, 0
	s_mul_i32 s26, s25, s26
	s_add_u32 s30, s27, s26
	s_addc_u32 s31, 0, s28
	s_mul_i32 s26, s20, s31
	s_mul_hi_u32 s27, s20, s30
	s_add_i32 s26, s27, s26
	s_mul_i32 s27, s21, s30
	s_add_i32 s33, s26, s27
	s_sub_i32 s28, s25, s33
	s_mul_i32 s26, s20, s30
	s_sub_u32 s24, s24, s26
	s_cselect_b64 s[26:27], -1, 0
	s_cmp_lg_u64 s[26:27], 0
	s_subb_u32 s34, s28, s21
	s_sub_u32 s35, s24, s20
	s_cselect_b64 s[28:29], -1, 0
	s_cmp_lg_u64 s[28:29], 0
	s_subb_u32 s28, s34, 0
	s_cmp_ge_u32 s28, s21
	s_cselect_b32 s29, -1, 0
	s_cmp_ge_u32 s35, s20
	s_cselect_b32 s34, -1, 0
	s_cmp_eq_u32 s28, s21
	s_cselect_b32 s28, s34, s29
	s_add_u32 s29, s30, 1
	s_addc_u32 s34, s31, 0
	s_add_u32 s35, s30, 2
	s_addc_u32 s36, s31, 0
	s_cmp_lg_u32 s28, 0
	s_cselect_b32 s28, s35, s29
	s_cselect_b32 s29, s36, s34
	s_cmp_lg_u64 s[26:27], 0
	s_subb_u32 s25, s25, s33
	s_cmp_ge_u32 s25, s21
	s_cselect_b32 s26, -1, 0
	s_cmp_ge_u32 s24, s20
	s_cselect_b32 s20, -1, 0
	s_cmp_eq_u32 s25, s21
	s_cselect_b32 s20, s20, s26
	s_cmp_lg_u32 s20, 0
	s_cselect_b32 s21, s29, s31
	s_cselect_b32 s20, s28, s30
	s_xor_b64 s[12:13], s[22:23], s[12:13]
	s_xor_b64 s[20:21], s[20:21], s[12:13]
	s_sub_u32 s20, s20, s12
	s_subb_u32 s21, s21, s13
	s_cbranch_execnz .LBB8_6
.LBB8_5:
	v_cvt_f32_u32_e32 v1, s4
	s_sub_i32 s12, 0, s4
	s_mov_b32 s21, 0
	v_rcp_iflag_f32_e32 v1, v1
	s_nop 0
	v_mul_f32_e32 v1, 0x4f7ffffe, v1
	v_cvt_u32_f32_e32 v1, v1
	s_nop 0
	v_readfirstlane_b32 s13, v1
	s_mul_i32 s12, s12, s13
	s_mul_hi_u32 s12, s13, s12
	s_add_i32 s13, s13, s12
	s_mul_hi_u32 s12, s8, s13
	s_mul_i32 s14, s12, s4
	s_sub_i32 s14, s8, s14
	s_add_i32 s13, s12, 1
	s_sub_i32 s15, s14, s4
	s_cmp_ge_u32 s14, s4
	s_cselect_b32 s12, s13, s12
	s_cselect_b32 s14, s15, s14
	s_add_i32 s13, s12, 1
	s_cmp_ge_u32 s14, s4
	s_cselect_b32 s20, s13, s12
.LBB8_6:
	s_load_dwordx4 s[12:15], s[0:1], 0x0
	s_load_dwordx2 s[24:25], s[0:1], 0x10
	s_load_dword s26, s[0:1], 0x54
	v_mov_b32_e32 v1, 0
	v_cmp_gt_i64_e32 vcc, s[6:7], v[0:1]
	s_and_saveexec_b64 s[0:1], vcc
	s_cbranch_execz .LBB8_10
; %bb.7:
	s_mul_i32 s11, s18, s11
	s_mul_hi_u32 s22, s18, s10
	s_add_i32 s11, s22, s11
	s_mul_i32 s22, s19, s10
	s_add_i32 s11, s11, s22
	s_mul_i32 s10, s18, s10
	s_lshl_b64 s[10:11], s[10:11], 2
	s_waitcnt lgkmcnt(0)
	s_add_u32 s14, s14, s10
	s_addc_u32 s15, s15, s11
	s_mul_i32 s10, s20, s7
	s_mul_hi_u32 s11, s20, s6
	s_add_i32 s10, s11, s10
	s_mul_i32 s11, s21, s6
	s_add_i32 s11, s10, s11
	s_mul_i32 s10, s20, s6
	s_lshl_b64 s[10:11], s[10:11], 2
	s_add_u32 s10, s14, s10
	s_addc_u32 s11, s15, s11
	s_lshl_b64 s[14:15], s[6:7], 2
	s_add_u32 s14, s10, s14
	s_mul_i32 s17, s18, s17
	s_mul_hi_u32 s22, s18, s16
	s_addc_u32 s15, s11, s15
	s_add_i32 s17, s22, s17
	s_mul_i32 s19, s19, s16
	s_add_i32 s17, s17, s19
	s_mul_i32 s16, s18, s16
	s_lshl_b64 s[16:17], s[16:17], 2
	s_add_u32 s16, s24, s16
	s_mul_i32 s5, s20, s5
	s_mul_hi_u32 s18, s20, s4
	s_addc_u32 s17, s25, s17
	s_add_i32 s5, s18, s5
	s_mul_i32 s18, s21, s4
	s_add_i32 s5, s5, s18
	s_mul_i32 s4, s20, s4
	s_sub_u32 s4, s8, s4
	s_subb_u32 s5, s9, s5
	s_mul_i32 s7, s4, s7
	s_mul_hi_u32 s8, s4, s6
	s_add_i32 s7, s8, s7
	s_mul_i32 s5, s5, s6
	s_add_i32 s5, s7, s5
	s_mul_i32 s4, s4, s6
	s_lshl_b64 s[4:5], s[4:5], 2
	s_add_u32 s4, s16, s4
	v_lshlrev_b32_e32 v2, 2, v0
	s_mov_b32 s23, 0
	v_mov_b32_e32 v3, 0
	s_addc_u32 s5, s17, s5
	s_and_b32 s8, s26, 0xffff
	v_lshl_add_u64 v[4:5], s[10:11], 0, v[2:3]
	s_lshl_b32 s22, s8, 2
	s_mov_b64 s[6:7], 0
	s_lshl_b32 s8, s8, 2
	s_mov_b32 s9, s23
	v_mov_b32_e32 v1, v3
.LBB8_8:                                ; =>This Inner Loop Header: Depth=1
	v_lshl_add_u64 v[8:9], s[10:11], 0, v[2:3]
	v_lshl_add_u64 v[6:7], s[4:5], 0, v[2:3]
	global_load_dword v10, v[8:9], off
	global_load_dword v11, v[6:7], off
	v_lshl_add_u64 v[4:5], v[4:5], 0, s[8:9]
	v_cmp_le_u64_e32 vcc, s[14:15], v[4:5]
	v_lshl_add_u64 v[2:3], v[2:3], 0, s[22:23]
	s_or_b64 s[6:7], vcc, s[6:7]
	s_waitcnt vmcnt(0)
	v_sub_f32_e32 v6, v10, v11
	v_fmac_f32_e32 v1, v6, v6
	s_andn2_b64 exec, exec, s[6:7]
	s_cbranch_execnz .LBB8_8
; %bb.9:
	s_or_b64 exec, exec, s[6:7]
.LBB8_10:
	s_or_b64 exec, exec, s[0:1]
	v_mbcnt_lo_u32_b32 v2, -1, 0
	v_mbcnt_hi_u32_b32 v6, -1, v2
	v_mov_b32_e32 v2, 0x80
	v_lshl_or_b32 v2, v6, 2, v2
	ds_bpermute_b32 v3, v2, v1
	v_and_b32_e32 v7, 63, v6
	v_cmp_gt_u32_e32 vcc, 48, v7
	s_waitcnt lgkmcnt(0)
	s_barrier
	v_cndmask_b32_e64 v4, 0, 16, vcc
	v_add_f32_e32 v5, v1, v3
	v_add_lshl_u32 v1, v4, v6, 2
	ds_bpermute_b32 v4, v1, v5
	v_cmp_gt_u32_e32 vcc, 56, v7
	s_waitcnt lgkmcnt(0)
	v_add_f32_e32 v5, v5, v4
	v_cndmask_b32_e64 v3, 0, 8, vcc
	v_add_lshl_u32 v3, v3, v6, 2
	ds_bpermute_b32 v8, v3, v5
	v_cmp_gt_u32_e32 vcc, 60, v7
	s_waitcnt lgkmcnt(0)
	v_add_f32_e32 v8, v5, v8
	v_cndmask_b32_e64 v4, 0, 4, vcc
	;; [unrolled: 6-line block ×3, first 2 shown]
	v_add_lshl_u32 v5, v5, v6, 2
	ds_bpermute_b32 v10, v5, v9
	v_cmp_ne_u32_e32 vcc, 63, v7
	v_and_b32_e32 v8, 63, v0
	s_waitcnt lgkmcnt(0)
	v_add_f32_e32 v7, v9, v10
	v_addc_co_u32_e32 v6, vcc, 0, v6, vcc
	v_lshlrev_b32_e32 v6, 2, v6
	ds_bpermute_b32 v9, v6, v7
	v_cmp_eq_u32_e32 vcc, 0, v8
	s_and_saveexec_b64 s[0:1], vcc
	s_cbranch_execz .LBB8_12
; %bb.11:
	s_waitcnt lgkmcnt(0)
	v_add_f32_e32 v7, v7, v9
	v_lshrrev_b32_e32 v9, 4, v0
	ds_write_b32 v9, v7
.LBB8_12:
	s_or_b64 exec, exec, s[0:1]
	s_and_b32 s0, 0xffff, s26
	s_lshr_b32 s0, s0, 6
	v_cmp_gt_u32_e32 vcc, s0, v0
	v_mov_b32_e32 v7, 0
	s_waitcnt lgkmcnt(0)
	s_barrier
	s_and_saveexec_b64 s[0:1], vcc
	s_cbranch_execnz .LBB8_16
; %bb.13:
	s_or_b64 exec, exec, s[0:1]
	v_cmp_gt_u32_e32 vcc, 64, v0
	s_and_saveexec_b64 s[0:1], vcc
	s_cbranch_execnz .LBB8_17
.LBB8_14:
	s_or_b64 exec, exec, s[0:1]
	v_cmp_eq_u32_e32 vcc, 0, v0
	s_and_saveexec_b64 s[0:1], vcc
	s_cbranch_execnz .LBB8_18
.LBB8_15:
	s_endpgm
.LBB8_16:
	v_lshlrev_b32_e32 v7, 2, v8
	ds_read_b32 v7, v7
	s_or_b64 exec, exec, s[0:1]
	v_cmp_gt_u32_e32 vcc, 64, v0
	s_and_saveexec_b64 s[0:1], vcc
	s_cbranch_execz .LBB8_14
.LBB8_17:
	s_waitcnt lgkmcnt(0)
	ds_bpermute_b32 v2, v2, v7
	s_waitcnt lgkmcnt(0)
	v_add_f32_e32 v2, v7, v2
	ds_bpermute_b32 v1, v1, v2
	s_waitcnt lgkmcnt(0)
	v_add_f32_e32 v1, v2, v1
	ds_bpermute_b32 v2, v3, v1
	s_waitcnt lgkmcnt(0)
	v_add_f32_e32 v1, v1, v2
	ds_bpermute_b32 v2, v4, v1
	s_waitcnt lgkmcnt(0)
	v_add_f32_e32 v1, v1, v2
	ds_bpermute_b32 v2, v5, v1
	s_waitcnt lgkmcnt(0)
	v_add_f32_e32 v1, v1, v2
	ds_bpermute_b32 v2, v6, v1
	s_waitcnt lgkmcnt(0)
	v_add_f32_e32 v7, v1, v2
	s_or_b64 exec, exec, s[0:1]
	v_cmp_eq_u32_e32 vcc, 0, v0
	s_and_saveexec_b64 s[0:1], vcc
	s_cbranch_execz .LBB8_15
.LBB8_18:
	s_lshl_b64 s[0:1], s[2:3], 2
	s_mov_b32 s2, 0xf800000
	s_waitcnt lgkmcnt(0)
	v_mul_f32_e32 v0, 0x4f800000, v7
	v_cmp_gt_f32_e32 vcc, s2, v7
	s_add_u32 s2, s12, s0
	s_addc_u32 s3, s13, s1
	v_cndmask_b32_e32 v0, v7, v0, vcc
	v_sqrt_f32_e32 v1, v0
	v_mov_b32_e32 v2, 0
	v_add_u32_e32 v3, -1, v1
	v_fma_f32 v4, -v3, v1, v0
	v_cmp_ge_f32_e64 s[0:1], 0, v4
	v_add_u32_e32 v4, 1, v1
	s_nop 0
	v_cndmask_b32_e64 v3, v1, v3, s[0:1]
	v_fma_f32 v1, -v4, v1, v0
	v_cmp_lt_f32_e64 s[0:1], 0, v1
	s_nop 1
	v_cndmask_b32_e64 v1, v3, v4, s[0:1]
	v_mul_f32_e32 v3, 0x37800000, v1
	v_cndmask_b32_e32 v1, v1, v3, vcc
	v_mov_b32_e32 v3, 0x260
	v_cmp_class_f32_e32 vcc, v0, v3
	s_nop 1
	v_cndmask_b32_e32 v0, v1, v0, vcc
	global_store_dword v2, v0, s[2:3]
	s_endpgm
.LBB8_19:
                                        ; implicit-def: $sgpr18_sgpr19
	s_branch .LBB8_2
.LBB8_20:
                                        ; implicit-def: $sgpr20_sgpr21
	s_branch .LBB8_5
	.section	.rodata,"a",@progbits
	.p2align	6, 0x0
	.amdhsa_kernel _ZN2at6native12_GLOBAL__N_122cdist_kernel_cuda_implIfNS1_5distsIfE3twoEEEvPT_PKS6_S9_S6_lllll
		.amdhsa_group_segment_fixed_size 1024
		.amdhsa_private_segment_fixed_size 0
		.amdhsa_kernarg_size 328
		.amdhsa_user_sgpr_count 2
		.amdhsa_user_sgpr_dispatch_ptr 0
		.amdhsa_user_sgpr_queue_ptr 0
		.amdhsa_user_sgpr_kernarg_segment_ptr 1
		.amdhsa_user_sgpr_dispatch_id 0
		.amdhsa_user_sgpr_kernarg_preload_length 0
		.amdhsa_user_sgpr_kernarg_preload_offset 0
		.amdhsa_user_sgpr_private_segment_size 0
		.amdhsa_uses_dynamic_stack 0
		.amdhsa_enable_private_segment 0
		.amdhsa_system_sgpr_workgroup_id_x 1
		.amdhsa_system_sgpr_workgroup_id_y 0
		.amdhsa_system_sgpr_workgroup_id_z 0
		.amdhsa_system_sgpr_workgroup_info 0
		.amdhsa_system_vgpr_workitem_id 0
		.amdhsa_next_free_vgpr 12
		.amdhsa_next_free_sgpr 37
		.amdhsa_accum_offset 12
		.amdhsa_reserve_vcc 1
		.amdhsa_float_round_mode_32 0
		.amdhsa_float_round_mode_16_64 0
		.amdhsa_float_denorm_mode_32 3
		.amdhsa_float_denorm_mode_16_64 3
		.amdhsa_dx10_clamp 1
		.amdhsa_ieee_mode 1
		.amdhsa_fp16_overflow 0
		.amdhsa_tg_split 0
		.amdhsa_exception_fp_ieee_invalid_op 0
		.amdhsa_exception_fp_denorm_src 0
		.amdhsa_exception_fp_ieee_div_zero 0
		.amdhsa_exception_fp_ieee_overflow 0
		.amdhsa_exception_fp_ieee_underflow 0
		.amdhsa_exception_fp_ieee_inexact 0
		.amdhsa_exception_int_div_zero 0
	.end_amdhsa_kernel
	.section	.text._ZN2at6native12_GLOBAL__N_122cdist_kernel_cuda_implIfNS1_5distsIfE3twoEEEvPT_PKS6_S9_S6_lllll,"axG",@progbits,_ZN2at6native12_GLOBAL__N_122cdist_kernel_cuda_implIfNS1_5distsIfE3twoEEEvPT_PKS6_S9_S6_lllll,comdat
.Lfunc_end8:
	.size	_ZN2at6native12_GLOBAL__N_122cdist_kernel_cuda_implIfNS1_5distsIfE3twoEEEvPT_PKS6_S9_S6_lllll, .Lfunc_end8-_ZN2at6native12_GLOBAL__N_122cdist_kernel_cuda_implIfNS1_5distsIfE3twoEEEvPT_PKS6_S9_S6_lllll
                                        ; -- End function
	.set _ZN2at6native12_GLOBAL__N_122cdist_kernel_cuda_implIfNS1_5distsIfE3twoEEEvPT_PKS6_S9_S6_lllll.num_vgpr, 12
	.set _ZN2at6native12_GLOBAL__N_122cdist_kernel_cuda_implIfNS1_5distsIfE3twoEEEvPT_PKS6_S9_S6_lllll.num_agpr, 0
	.set _ZN2at6native12_GLOBAL__N_122cdist_kernel_cuda_implIfNS1_5distsIfE3twoEEEvPT_PKS6_S9_S6_lllll.numbered_sgpr, 37
	.set _ZN2at6native12_GLOBAL__N_122cdist_kernel_cuda_implIfNS1_5distsIfE3twoEEEvPT_PKS6_S9_S6_lllll.num_named_barrier, 0
	.set _ZN2at6native12_GLOBAL__N_122cdist_kernel_cuda_implIfNS1_5distsIfE3twoEEEvPT_PKS6_S9_S6_lllll.private_seg_size, 0
	.set _ZN2at6native12_GLOBAL__N_122cdist_kernel_cuda_implIfNS1_5distsIfE3twoEEEvPT_PKS6_S9_S6_lllll.uses_vcc, 1
	.set _ZN2at6native12_GLOBAL__N_122cdist_kernel_cuda_implIfNS1_5distsIfE3twoEEEvPT_PKS6_S9_S6_lllll.uses_flat_scratch, 0
	.set _ZN2at6native12_GLOBAL__N_122cdist_kernel_cuda_implIfNS1_5distsIfE3twoEEEvPT_PKS6_S9_S6_lllll.has_dyn_sized_stack, 0
	.set _ZN2at6native12_GLOBAL__N_122cdist_kernel_cuda_implIfNS1_5distsIfE3twoEEEvPT_PKS6_S9_S6_lllll.has_recursion, 0
	.set _ZN2at6native12_GLOBAL__N_122cdist_kernel_cuda_implIfNS1_5distsIfE3twoEEEvPT_PKS6_S9_S6_lllll.has_indirect_call, 0
	.section	.AMDGPU.csdata,"",@progbits
; Kernel info:
; codeLenInByte = 2356
; TotalNumSgprs: 43
; NumVgprs: 12
; NumAgprs: 0
; TotalNumVgprs: 12
; ScratchSize: 0
; MemoryBound: 0
; FloatMode: 240
; IeeeMode: 1
; LDSByteSize: 1024 bytes/workgroup (compile time only)
; SGPRBlocks: 5
; VGPRBlocks: 1
; NumSGPRsForWavesPerEU: 43
; NumVGPRsForWavesPerEU: 12
; AccumOffset: 12
; Occupancy: 8
; WaveLimiterHint : 0
; COMPUTE_PGM_RSRC2:SCRATCH_EN: 0
; COMPUTE_PGM_RSRC2:USER_SGPR: 2
; COMPUTE_PGM_RSRC2:TRAP_HANDLER: 0
; COMPUTE_PGM_RSRC2:TGID_X_EN: 1
; COMPUTE_PGM_RSRC2:TGID_Y_EN: 0
; COMPUTE_PGM_RSRC2:TGID_Z_EN: 0
; COMPUTE_PGM_RSRC2:TIDIG_COMP_CNT: 0
; COMPUTE_PGM_RSRC3_GFX90A:ACCUM_OFFSET: 2
; COMPUTE_PGM_RSRC3_GFX90A:TG_SPLIT: 0
	.section	.text._ZN2at6native12_GLOBAL__N_122cdist_kernel_cuda_implIfNS1_5distsIfE3infEEEvPT_PKS6_S9_S6_lllll,"axG",@progbits,_ZN2at6native12_GLOBAL__N_122cdist_kernel_cuda_implIfNS1_5distsIfE3infEEEvPT_PKS6_S9_S6_lllll,comdat
	.globl	_ZN2at6native12_GLOBAL__N_122cdist_kernel_cuda_implIfNS1_5distsIfE3infEEEvPT_PKS6_S9_S6_lllll ; -- Begin function _ZN2at6native12_GLOBAL__N_122cdist_kernel_cuda_implIfNS1_5distsIfE3infEEEvPT_PKS6_S9_S6_lllll
	.p2align	8
	.type	_ZN2at6native12_GLOBAL__N_122cdist_kernel_cuda_implIfNS1_5distsIfE3infEEEvPT_PKS6_S9_S6_lllll,@function
_ZN2at6native12_GLOBAL__N_122cdist_kernel_cuda_implIfNS1_5distsIfE3infEEEvPT_PKS6_S9_S6_lllll: ; @_ZN2at6native12_GLOBAL__N_122cdist_kernel_cuda_implIfNS1_5distsIfE3infEEEvPT_PKS6_S9_S6_lllll
; %bb.0:
	s_load_dwordx8 s[4:11], s[0:1], 0x20
	s_load_dwordx2 s[16:17], s[0:1], 0x40
	s_mov_b32 s3, 0
	s_mov_b32 s12, s3
	s_waitcnt lgkmcnt(0)
	s_mov_b32 s13, s9
	s_cmp_lg_u64 s[12:13], 0
	s_cbranch_scc0 .LBB9_19
; %bb.1:
	s_ashr_i32 s12, s9, 31
	s_add_u32 s14, s8, s12
	s_mov_b32 s13, s12
	s_addc_u32 s15, s9, s12
	s_xor_b64 s[18:19], s[14:15], s[12:13]
	v_cvt_f32_u32_e32 v1, s18
	v_cvt_f32_u32_e32 v2, s19
	s_sub_u32 s22, 0, s18
	s_subb_u32 s23, 0, s19
	v_fmamk_f32 v1, v2, 0x4f800000, v1
	v_rcp_f32_e32 v1, v1
	s_nop 0
	v_mul_f32_e32 v1, 0x5f7ffffc, v1
	v_mul_f32_e32 v2, 0x2f800000, v1
	v_trunc_f32_e32 v2, v2
	v_fmamk_f32 v1, v2, 0xcf800000, v1
	v_cvt_u32_f32_e32 v2, v2
	v_cvt_u32_f32_e32 v1, v1
	v_readfirstlane_b32 s24, v2
	v_readfirstlane_b32 s20, v1
	s_mul_i32 s21, s22, s24
	s_mul_hi_u32 s26, s22, s20
	s_mul_i32 s25, s23, s20
	s_add_i32 s21, s26, s21
	s_add_i32 s21, s21, s25
	s_mul_i32 s27, s22, s20
	s_mul_i32 s26, s20, s21
	s_mul_hi_u32 s28, s20, s27
	s_mul_hi_u32 s25, s20, s21
	s_add_u32 s26, s28, s26
	s_addc_u32 s25, 0, s25
	s_mul_hi_u32 s29, s24, s27
	s_mul_i32 s27, s24, s27
	s_add_u32 s26, s26, s27
	s_mul_hi_u32 s28, s24, s21
	s_addc_u32 s25, s25, s29
	s_addc_u32 s26, s28, 0
	s_mul_i32 s21, s24, s21
	s_add_u32 s21, s25, s21
	s_addc_u32 s25, 0, s26
	s_add_u32 s26, s20, s21
	s_cselect_b64 s[20:21], -1, 0
	s_cmp_lg_u64 s[20:21], 0
	s_addc_u32 s24, s24, s25
	s_mul_i32 s20, s22, s24
	s_mul_hi_u32 s21, s22, s26
	s_add_i32 s20, s21, s20
	s_mul_i32 s23, s23, s26
	s_add_i32 s20, s20, s23
	s_mul_i32 s22, s22, s26
	s_mul_hi_u32 s23, s24, s22
	s_mul_i32 s25, s24, s22
	s_mul_i32 s28, s26, s20
	s_mul_hi_u32 s22, s26, s22
	s_mul_hi_u32 s27, s26, s20
	s_add_u32 s22, s22, s28
	s_addc_u32 s27, 0, s27
	s_add_u32 s22, s22, s25
	s_mul_hi_u32 s21, s24, s20
	s_addc_u32 s22, s27, s23
	s_addc_u32 s21, s21, 0
	s_mul_i32 s20, s24, s20
	s_add_u32 s20, s22, s20
	s_addc_u32 s22, 0, s21
	s_add_u32 s23, s26, s20
	s_cselect_b64 s[20:21], -1, 0
	s_cmp_lg_u64 s[20:21], 0
	s_addc_u32 s22, s24, s22
	s_add_u32 s20, s2, 0
	s_addc_u32 s21, 0, 0
	s_xor_b64 s[20:21], s[20:21], 0
	s_mul_i32 s25, s20, s22
	s_mul_hi_u32 s26, s20, s23
	s_mul_hi_u32 s24, s20, s22
	s_add_u32 s25, s26, s25
	s_addc_u32 s24, 0, s24
	s_mul_hi_u32 s27, s21, s23
	s_mul_i32 s23, s21, s23
	s_add_u32 s23, s25, s23
	s_mul_hi_u32 s26, s21, s22
	s_addc_u32 s23, s24, s27
	s_addc_u32 s24, s26, 0
	s_mul_i32 s22, s21, s22
	s_add_u32 s26, s23, s22
	s_addc_u32 s27, 0, s24
	s_mul_i32 s22, s18, s27
	s_mul_hi_u32 s23, s18, s26
	s_add_i32 s22, s23, s22
	s_mul_i32 s23, s19, s26
	s_add_i32 s28, s22, s23
	s_sub_i32 s24, s21, s28
	s_mul_i32 s22, s18, s26
	s_sub_u32 s20, s20, s22
	s_cselect_b64 s[22:23], -1, 0
	s_cmp_lg_u64 s[22:23], 0
	s_subb_u32 s29, s24, s19
	s_sub_u32 s30, s20, s18
	s_cselect_b64 s[24:25], -1, 0
	s_cmp_lg_u64 s[24:25], 0
	s_subb_u32 s24, s29, 0
	s_cmp_ge_u32 s24, s19
	s_cselect_b32 s25, -1, 0
	s_cmp_ge_u32 s30, s18
	s_cselect_b32 s29, -1, 0
	s_cmp_eq_u32 s24, s19
	s_cselect_b32 s24, s29, s25
	s_add_u32 s25, s26, 1
	s_addc_u32 s29, s27, 0
	s_add_u32 s30, s26, 2
	s_addc_u32 s31, s27, 0
	s_cmp_lg_u32 s24, 0
	s_cselect_b32 s24, s30, s25
	s_cselect_b32 s25, s31, s29
	s_cmp_lg_u64 s[22:23], 0
	s_subb_u32 s21, s21, s28
	s_cmp_ge_u32 s21, s19
	s_cselect_b32 s22, -1, 0
	s_cmp_ge_u32 s20, s18
	s_cselect_b32 s18, -1, 0
	s_cmp_eq_u32 s21, s19
	s_cselect_b32 s18, s18, s22
	s_cmp_lg_u32 s18, 0
	s_cselect_b32 s19, s25, s27
	s_cselect_b32 s18, s24, s26
	s_xor_b64 s[12:13], 0, s[12:13]
	s_xor_b64 s[18:19], s[18:19], s[12:13]
	s_sub_u32 s18, s18, s12
	s_subb_u32 s19, s19, s13
	s_cbranch_execnz .LBB9_3
.LBB9_2:
	v_cvt_f32_u32_e32 v1, s8
	s_sub_i32 s12, 0, s8
	s_mov_b32 s19, 0
	v_rcp_iflag_f32_e32 v1, v1
	s_nop 0
	v_mul_f32_e32 v1, 0x4f7ffffe, v1
	v_cvt_u32_f32_e32 v1, v1
	s_nop 0
	v_readfirstlane_b32 s13, v1
	s_mul_i32 s12, s12, s13
	s_mul_hi_u32 s12, s13, s12
	s_add_i32 s13, s13, s12
	s_mul_hi_u32 s12, s2, s13
	s_mul_i32 s14, s12, s8
	s_sub_i32 s14, s2, s14
	s_add_i32 s13, s12, 1
	s_sub_i32 s15, s14, s8
	s_cmp_ge_u32 s14, s8
	s_cselect_b32 s12, s13, s12
	s_cselect_b32 s14, s15, s14
	s_add_i32 s13, s12, 1
	s_cmp_ge_u32 s14, s8
	s_cselect_b32 s18, s13, s12
.LBB9_3:
	s_mul_i32 s9, s18, s9
	s_mul_hi_u32 s12, s18, s8
	s_add_i32 s9, s12, s9
	s_mul_i32 s12, s19, s8
	s_add_i32 s9, s9, s12
	s_mul_i32 s8, s18, s8
	s_sub_u32 s8, s2, s8
	s_subb_u32 s9, 0, s9
	s_or_b64 s[12:13], s[8:9], s[4:5]
	s_mov_b32 s12, 0
	s_cmp_lg_u64 s[12:13], 0
	s_cbranch_scc0 .LBB9_20
; %bb.4:
	s_ashr_i32 s12, s5, 31
	s_add_u32 s14, s4, s12
	s_mov_b32 s13, s12
	s_addc_u32 s15, s5, s12
	s_xor_b64 s[20:21], s[14:15], s[12:13]
	v_cvt_f32_u32_e32 v1, s20
	v_cvt_f32_u32_e32 v2, s21
	s_sub_u32 s24, 0, s20
	s_subb_u32 s25, 0, s21
	v_fmamk_f32 v1, v2, 0x4f800000, v1
	v_rcp_f32_e32 v1, v1
	s_nop 0
	v_mul_f32_e32 v1, 0x5f7ffffc, v1
	v_mul_f32_e32 v2, 0x2f800000, v1
	v_trunc_f32_e32 v2, v2
	v_fmamk_f32 v1, v2, 0xcf800000, v1
	v_cvt_u32_f32_e32 v2, v2
	v_cvt_u32_f32_e32 v1, v1
	v_readfirstlane_b32 s26, v2
	v_readfirstlane_b32 s22, v1
	s_mul_i32 s23, s24, s26
	s_mul_hi_u32 s28, s24, s22
	s_mul_i32 s27, s25, s22
	s_add_i32 s23, s28, s23
	s_add_i32 s23, s23, s27
	s_mul_i32 s29, s24, s22
	s_mul_i32 s28, s22, s23
	s_mul_hi_u32 s30, s22, s29
	s_mul_hi_u32 s27, s22, s23
	s_add_u32 s28, s30, s28
	s_addc_u32 s27, 0, s27
	s_mul_hi_u32 s31, s26, s29
	s_mul_i32 s29, s26, s29
	s_add_u32 s28, s28, s29
	s_mul_hi_u32 s30, s26, s23
	s_addc_u32 s27, s27, s31
	s_addc_u32 s28, s30, 0
	s_mul_i32 s23, s26, s23
	s_add_u32 s23, s27, s23
	s_addc_u32 s27, 0, s28
	s_add_u32 s28, s22, s23
	s_cselect_b64 s[22:23], -1, 0
	s_cmp_lg_u64 s[22:23], 0
	s_addc_u32 s26, s26, s27
	s_mul_i32 s22, s24, s26
	s_mul_hi_u32 s23, s24, s28
	s_add_i32 s22, s23, s22
	s_mul_i32 s25, s25, s28
	s_add_i32 s22, s22, s25
	s_mul_i32 s24, s24, s28
	s_mul_hi_u32 s25, s26, s24
	s_mul_i32 s27, s26, s24
	s_mul_i32 s30, s28, s22
	s_mul_hi_u32 s24, s28, s24
	s_mul_hi_u32 s29, s28, s22
	s_add_u32 s24, s24, s30
	s_addc_u32 s29, 0, s29
	s_add_u32 s24, s24, s27
	s_mul_hi_u32 s23, s26, s22
	s_addc_u32 s24, s29, s25
	s_addc_u32 s23, s23, 0
	s_mul_i32 s22, s26, s22
	s_add_u32 s22, s24, s22
	s_addc_u32 s24, 0, s23
	s_add_u32 s27, s28, s22
	s_cselect_b64 s[22:23], -1, 0
	s_cmp_lg_u64 s[22:23], 0
	s_addc_u32 s26, s26, s24
	s_ashr_i32 s22, s9, 31
	s_add_u32 s24, s8, s22
	s_mov_b32 s23, s22
	s_addc_u32 s25, s9, s22
	s_xor_b64 s[24:25], s[24:25], s[22:23]
	s_mul_i32 s29, s24, s26
	s_mul_hi_u32 s30, s24, s27
	s_mul_hi_u32 s28, s24, s26
	s_add_u32 s29, s30, s29
	s_addc_u32 s28, 0, s28
	s_mul_hi_u32 s31, s25, s27
	s_mul_i32 s27, s25, s27
	s_add_u32 s27, s29, s27
	s_mul_hi_u32 s30, s25, s26
	s_addc_u32 s27, s28, s31
	s_addc_u32 s28, s30, 0
	s_mul_i32 s26, s25, s26
	s_add_u32 s30, s27, s26
	s_addc_u32 s31, 0, s28
	s_mul_i32 s26, s20, s31
	s_mul_hi_u32 s27, s20, s30
	s_add_i32 s26, s27, s26
	s_mul_i32 s27, s21, s30
	s_add_i32 s33, s26, s27
	s_sub_i32 s28, s25, s33
	s_mul_i32 s26, s20, s30
	s_sub_u32 s24, s24, s26
	s_cselect_b64 s[26:27], -1, 0
	s_cmp_lg_u64 s[26:27], 0
	s_subb_u32 s34, s28, s21
	s_sub_u32 s35, s24, s20
	s_cselect_b64 s[28:29], -1, 0
	s_cmp_lg_u64 s[28:29], 0
	s_subb_u32 s28, s34, 0
	s_cmp_ge_u32 s28, s21
	s_cselect_b32 s29, -1, 0
	s_cmp_ge_u32 s35, s20
	s_cselect_b32 s34, -1, 0
	s_cmp_eq_u32 s28, s21
	s_cselect_b32 s28, s34, s29
	s_add_u32 s29, s30, 1
	s_addc_u32 s34, s31, 0
	s_add_u32 s35, s30, 2
	s_addc_u32 s36, s31, 0
	s_cmp_lg_u32 s28, 0
	s_cselect_b32 s28, s35, s29
	s_cselect_b32 s29, s36, s34
	s_cmp_lg_u64 s[26:27], 0
	s_subb_u32 s25, s25, s33
	s_cmp_ge_u32 s25, s21
	s_cselect_b32 s26, -1, 0
	s_cmp_ge_u32 s24, s20
	s_cselect_b32 s20, -1, 0
	s_cmp_eq_u32 s25, s21
	s_cselect_b32 s20, s20, s26
	s_cmp_lg_u32 s20, 0
	s_cselect_b32 s21, s29, s31
	s_cselect_b32 s20, s28, s30
	s_xor_b64 s[12:13], s[22:23], s[12:13]
	s_xor_b64 s[20:21], s[20:21], s[12:13]
	s_sub_u32 s20, s20, s12
	s_subb_u32 s21, s21, s13
	s_cbranch_execnz .LBB9_6
.LBB9_5:
	v_cvt_f32_u32_e32 v1, s4
	s_sub_i32 s12, 0, s4
	s_mov_b32 s21, 0
	v_rcp_iflag_f32_e32 v1, v1
	s_nop 0
	v_mul_f32_e32 v1, 0x4f7ffffe, v1
	v_cvt_u32_f32_e32 v1, v1
	s_nop 0
	v_readfirstlane_b32 s13, v1
	s_mul_i32 s12, s12, s13
	s_mul_hi_u32 s12, s13, s12
	s_add_i32 s13, s13, s12
	s_mul_hi_u32 s12, s8, s13
	s_mul_i32 s14, s12, s4
	s_sub_i32 s14, s8, s14
	s_add_i32 s13, s12, 1
	s_sub_i32 s15, s14, s4
	s_cmp_ge_u32 s14, s4
	s_cselect_b32 s12, s13, s12
	s_cselect_b32 s14, s15, s14
	s_add_i32 s13, s12, 1
	s_cmp_ge_u32 s14, s4
	s_cselect_b32 s20, s13, s12
.LBB9_6:
	s_load_dwordx4 s[12:15], s[0:1], 0x0
	s_load_dwordx2 s[24:25], s[0:1], 0x10
	s_load_dword s26, s[0:1], 0x54
	v_mov_b32_e32 v1, 0
	v_cmp_gt_i64_e32 vcc, s[6:7], v[0:1]
	s_and_saveexec_b64 s[0:1], vcc
	s_cbranch_execz .LBB9_10
; %bb.7:
	s_mul_i32 s11, s18, s11
	s_mul_hi_u32 s22, s18, s10
	s_add_i32 s11, s22, s11
	s_mul_i32 s22, s19, s10
	s_add_i32 s11, s11, s22
	s_mul_i32 s10, s18, s10
	s_lshl_b64 s[10:11], s[10:11], 2
	s_waitcnt lgkmcnt(0)
	s_add_u32 s14, s14, s10
	s_addc_u32 s15, s15, s11
	s_mul_i32 s10, s20, s7
	s_mul_hi_u32 s11, s20, s6
	s_add_i32 s10, s11, s10
	s_mul_i32 s11, s21, s6
	s_add_i32 s11, s10, s11
	s_mul_i32 s10, s20, s6
	s_lshl_b64 s[10:11], s[10:11], 2
	s_add_u32 s10, s14, s10
	s_addc_u32 s11, s15, s11
	s_lshl_b64 s[14:15], s[6:7], 2
	s_add_u32 s14, s10, s14
	s_mul_i32 s17, s18, s17
	s_mul_hi_u32 s22, s18, s16
	s_addc_u32 s15, s11, s15
	s_add_i32 s17, s22, s17
	s_mul_i32 s19, s19, s16
	s_add_i32 s17, s17, s19
	s_mul_i32 s16, s18, s16
	s_lshl_b64 s[16:17], s[16:17], 2
	s_add_u32 s16, s24, s16
	s_mul_i32 s5, s20, s5
	s_mul_hi_u32 s18, s20, s4
	s_addc_u32 s17, s25, s17
	s_add_i32 s5, s18, s5
	s_mul_i32 s18, s21, s4
	s_add_i32 s5, s5, s18
	s_mul_i32 s4, s20, s4
	s_sub_u32 s4, s8, s4
	s_subb_u32 s5, s9, s5
	s_mul_i32 s7, s4, s7
	s_mul_hi_u32 s8, s4, s6
	s_add_i32 s7, s8, s7
	s_mul_i32 s5, s5, s6
	s_add_i32 s5, s7, s5
	s_mul_i32 s4, s4, s6
	s_lshl_b64 s[4:5], s[4:5], 2
	s_add_u32 s4, s16, s4
	v_lshlrev_b32_e32 v2, 2, v0
	s_mov_b32 s23, 0
	v_mov_b32_e32 v3, 0
	s_addc_u32 s5, s17, s5
	s_and_b32 s8, s26, 0xffff
	v_lshl_add_u64 v[4:5], s[10:11], 0, v[2:3]
	s_lshl_b32 s22, s8, 2
	s_mov_b64 s[6:7], 0
	s_lshl_b32 s8, s8, 2
	s_mov_b32 s9, s23
	v_mov_b32_e32 v1, v3
.LBB9_8:                                ; =>This Inner Loop Header: Depth=1
	v_lshl_add_u64 v[8:9], s[10:11], 0, v[2:3]
	v_lshl_add_u64 v[6:7], s[4:5], 0, v[2:3]
	global_load_dword v10, v[8:9], off
	global_load_dword v11, v[6:7], off
	v_lshl_add_u64 v[4:5], v[4:5], 0, s[8:9]
	v_cmp_le_u64_e32 vcc, s[14:15], v[4:5]
	v_lshl_add_u64 v[2:3], v[2:3], 0, s[22:23]
	s_or_b64 s[6:7], vcc, s[6:7]
	s_waitcnt vmcnt(0)
	v_sub_f32_e32 v6, v10, v11
	v_cmp_gt_f32_e64 s[16:17], |v6|, v1
	s_nop 1
	v_cndmask_b32_e64 v1, v1, |v6|, s[16:17]
	s_andn2_b64 exec, exec, s[6:7]
	s_cbranch_execnz .LBB9_8
; %bb.9:
	s_or_b64 exec, exec, s[6:7]
.LBB9_10:
	s_or_b64 exec, exec, s[0:1]
	v_mbcnt_lo_u32_b32 v2, -1, 0
	v_mbcnt_hi_u32_b32 v6, -1, v2
	v_mov_b32_e32 v2, 0x80
	v_lshl_or_b32 v2, v6, 2, v2
	ds_bpermute_b32 v3, v2, v1
	v_and_b32_e32 v9, 63, v6
	v_and_b32_e32 v8, 63, v0
	s_waitcnt lgkmcnt(0)
	s_barrier
	v_cmp_lt_f32_e32 vcc, v1, v3
	s_nop 1
	v_cndmask_b32_e32 v3, v1, v3, vcc
	v_cmp_gt_u32_e32 vcc, 48, v9
	s_nop 1
	v_cndmask_b32_e64 v1, 0, 16, vcc
	v_add_lshl_u32 v1, v1, v6, 2
	ds_bpermute_b32 v4, v1, v3
	s_waitcnt lgkmcnt(0)
	v_cmp_lt_f32_e32 vcc, v3, v4
	s_nop 1
	v_cndmask_b32_e32 v4, v3, v4, vcc
	v_cmp_gt_u32_e32 vcc, 56, v9
	s_nop 1
	v_cndmask_b32_e64 v3, 0, 8, vcc
	v_add_lshl_u32 v3, v3, v6, 2
	ds_bpermute_b32 v5, v3, v4
	s_waitcnt lgkmcnt(0)
	;; [unrolled: 9-line block ×4, first 2 shown]
	v_cmp_lt_f32_e32 vcc, v7, v10
	s_nop 1
	v_cndmask_b32_e32 v7, v7, v10, vcc
	v_cmp_ne_u32_e32 vcc, 63, v9
	s_nop 1
	v_addc_co_u32_e32 v6, vcc, 0, v6, vcc
	v_lshlrev_b32_e32 v6, 2, v6
	ds_bpermute_b32 v9, v6, v7
	v_cmp_eq_u32_e32 vcc, 0, v8
	s_and_saveexec_b64 s[0:1], vcc
	s_cbranch_execz .LBB9_12
; %bb.11:
	s_waitcnt lgkmcnt(0)
	v_cmp_lt_f32_e32 vcc, v7, v9
	s_nop 1
	v_cndmask_b32_e32 v7, v7, v9, vcc
	v_lshrrev_b32_e32 v9, 4, v0
	ds_write_b32 v9, v7
.LBB9_12:
	s_or_b64 exec, exec, s[0:1]
	s_and_b32 s0, 0xffff, s26
	s_lshr_b32 s0, s0, 6
	v_cmp_gt_u32_e32 vcc, s0, v0
	v_mov_b32_e32 v7, 0
	s_waitcnt lgkmcnt(0)
	s_barrier
	s_and_saveexec_b64 s[0:1], vcc
	s_cbranch_execnz .LBB9_16
; %bb.13:
	s_or_b64 exec, exec, s[0:1]
	v_cmp_gt_u32_e32 vcc, 64, v0
	s_and_saveexec_b64 s[0:1], vcc
	s_cbranch_execnz .LBB9_17
.LBB9_14:
	s_or_b64 exec, exec, s[0:1]
	v_cmp_eq_u32_e32 vcc, 0, v0
	s_and_saveexec_b64 s[0:1], vcc
	s_cbranch_execnz .LBB9_18
.LBB9_15:
	s_endpgm
.LBB9_16:
	v_lshlrev_b32_e32 v7, 2, v8
	ds_read_b32 v7, v7
	s_or_b64 exec, exec, s[0:1]
	v_cmp_gt_u32_e32 vcc, 64, v0
	s_and_saveexec_b64 s[0:1], vcc
	s_cbranch_execz .LBB9_14
.LBB9_17:
	s_waitcnt lgkmcnt(0)
	ds_bpermute_b32 v2, v2, v7
	s_waitcnt lgkmcnt(0)
	v_cmp_lt_f32_e32 vcc, v7, v2
	s_nop 1
	v_cndmask_b32_e32 v2, v7, v2, vcc
	ds_bpermute_b32 v1, v1, v2
	s_waitcnt lgkmcnt(0)
	v_cmp_lt_f32_e32 vcc, v2, v1
	s_nop 1
	v_cndmask_b32_e32 v1, v2, v1, vcc
	;; [unrolled: 5-line block ×6, first 2 shown]
	s_or_b64 exec, exec, s[0:1]
	v_cmp_eq_u32_e32 vcc, 0, v0
	s_and_saveexec_b64 s[0:1], vcc
	s_cbranch_execz .LBB9_15
.LBB9_18:
	s_lshl_b64 s[0:1], s[2:3], 2
	s_add_u32 s0, s12, s0
	s_addc_u32 s1, s13, s1
	v_mov_b32_e32 v0, 0
	s_waitcnt lgkmcnt(0)
	global_store_dword v0, v7, s[0:1]
	s_endpgm
.LBB9_19:
                                        ; implicit-def: $sgpr18_sgpr19
	s_branch .LBB9_2
.LBB9_20:
                                        ; implicit-def: $sgpr20_sgpr21
	s_branch .LBB9_5
	.section	.rodata,"a",@progbits
	.p2align	6, 0x0
	.amdhsa_kernel _ZN2at6native12_GLOBAL__N_122cdist_kernel_cuda_implIfNS1_5distsIfE3infEEEvPT_PKS6_S9_S6_lllll
		.amdhsa_group_segment_fixed_size 1024
		.amdhsa_private_segment_fixed_size 0
		.amdhsa_kernarg_size 328
		.amdhsa_user_sgpr_count 2
		.amdhsa_user_sgpr_dispatch_ptr 0
		.amdhsa_user_sgpr_queue_ptr 0
		.amdhsa_user_sgpr_kernarg_segment_ptr 1
		.amdhsa_user_sgpr_dispatch_id 0
		.amdhsa_user_sgpr_kernarg_preload_length 0
		.amdhsa_user_sgpr_kernarg_preload_offset 0
		.amdhsa_user_sgpr_private_segment_size 0
		.amdhsa_uses_dynamic_stack 0
		.amdhsa_enable_private_segment 0
		.amdhsa_system_sgpr_workgroup_id_x 1
		.amdhsa_system_sgpr_workgroup_id_y 0
		.amdhsa_system_sgpr_workgroup_id_z 0
		.amdhsa_system_sgpr_workgroup_info 0
		.amdhsa_system_vgpr_workitem_id 0
		.amdhsa_next_free_vgpr 12
		.amdhsa_next_free_sgpr 37
		.amdhsa_accum_offset 12
		.amdhsa_reserve_vcc 1
		.amdhsa_float_round_mode_32 0
		.amdhsa_float_round_mode_16_64 0
		.amdhsa_float_denorm_mode_32 3
		.amdhsa_float_denorm_mode_16_64 3
		.amdhsa_dx10_clamp 1
		.amdhsa_ieee_mode 1
		.amdhsa_fp16_overflow 0
		.amdhsa_tg_split 0
		.amdhsa_exception_fp_ieee_invalid_op 0
		.amdhsa_exception_fp_denorm_src 0
		.amdhsa_exception_fp_ieee_div_zero 0
		.amdhsa_exception_fp_ieee_overflow 0
		.amdhsa_exception_fp_ieee_underflow 0
		.amdhsa_exception_fp_ieee_inexact 0
		.amdhsa_exception_int_div_zero 0
	.end_amdhsa_kernel
	.section	.text._ZN2at6native12_GLOBAL__N_122cdist_kernel_cuda_implIfNS1_5distsIfE3infEEEvPT_PKS6_S9_S6_lllll,"axG",@progbits,_ZN2at6native12_GLOBAL__N_122cdist_kernel_cuda_implIfNS1_5distsIfE3infEEEvPT_PKS6_S9_S6_lllll,comdat
.Lfunc_end9:
	.size	_ZN2at6native12_GLOBAL__N_122cdist_kernel_cuda_implIfNS1_5distsIfE3infEEEvPT_PKS6_S9_S6_lllll, .Lfunc_end9-_ZN2at6native12_GLOBAL__N_122cdist_kernel_cuda_implIfNS1_5distsIfE3infEEEvPT_PKS6_S9_S6_lllll
                                        ; -- End function
	.set _ZN2at6native12_GLOBAL__N_122cdist_kernel_cuda_implIfNS1_5distsIfE3infEEEvPT_PKS6_S9_S6_lllll.num_vgpr, 12
	.set _ZN2at6native12_GLOBAL__N_122cdist_kernel_cuda_implIfNS1_5distsIfE3infEEEvPT_PKS6_S9_S6_lllll.num_agpr, 0
	.set _ZN2at6native12_GLOBAL__N_122cdist_kernel_cuda_implIfNS1_5distsIfE3infEEEvPT_PKS6_S9_S6_lllll.numbered_sgpr, 37
	.set _ZN2at6native12_GLOBAL__N_122cdist_kernel_cuda_implIfNS1_5distsIfE3infEEEvPT_PKS6_S9_S6_lllll.num_named_barrier, 0
	.set _ZN2at6native12_GLOBAL__N_122cdist_kernel_cuda_implIfNS1_5distsIfE3infEEEvPT_PKS6_S9_S6_lllll.private_seg_size, 0
	.set _ZN2at6native12_GLOBAL__N_122cdist_kernel_cuda_implIfNS1_5distsIfE3infEEEvPT_PKS6_S9_S6_lllll.uses_vcc, 1
	.set _ZN2at6native12_GLOBAL__N_122cdist_kernel_cuda_implIfNS1_5distsIfE3infEEEvPT_PKS6_S9_S6_lllll.uses_flat_scratch, 0
	.set _ZN2at6native12_GLOBAL__N_122cdist_kernel_cuda_implIfNS1_5distsIfE3infEEEvPT_PKS6_S9_S6_lllll.has_dyn_sized_stack, 0
	.set _ZN2at6native12_GLOBAL__N_122cdist_kernel_cuda_implIfNS1_5distsIfE3infEEEvPT_PKS6_S9_S6_lllll.has_recursion, 0
	.set _ZN2at6native12_GLOBAL__N_122cdist_kernel_cuda_implIfNS1_5distsIfE3infEEEvPT_PKS6_S9_S6_lllll.has_indirect_call, 0
	.section	.AMDGPU.csdata,"",@progbits
; Kernel info:
; codeLenInByte = 2364
; TotalNumSgprs: 43
; NumVgprs: 12
; NumAgprs: 0
; TotalNumVgprs: 12
; ScratchSize: 0
; MemoryBound: 0
; FloatMode: 240
; IeeeMode: 1
; LDSByteSize: 1024 bytes/workgroup (compile time only)
; SGPRBlocks: 5
; VGPRBlocks: 1
; NumSGPRsForWavesPerEU: 43
; NumVGPRsForWavesPerEU: 12
; AccumOffset: 12
; Occupancy: 8
; WaveLimiterHint : 0
; COMPUTE_PGM_RSRC2:SCRATCH_EN: 0
; COMPUTE_PGM_RSRC2:USER_SGPR: 2
; COMPUTE_PGM_RSRC2:TRAP_HANDLER: 0
; COMPUTE_PGM_RSRC2:TGID_X_EN: 1
; COMPUTE_PGM_RSRC2:TGID_Y_EN: 0
; COMPUTE_PGM_RSRC2:TGID_Z_EN: 0
; COMPUTE_PGM_RSRC2:TIDIG_COMP_CNT: 0
; COMPUTE_PGM_RSRC3_GFX90A:ACCUM_OFFSET: 2
; COMPUTE_PGM_RSRC3_GFX90A:TG_SPLIT: 0
	.section	.text._ZN2at6native12_GLOBAL__N_122pdist_kernel_cuda_implIdNS1_5distsIdE1pEEEvPT_PKS6_llS6_dd,"axG",@progbits,_ZN2at6native12_GLOBAL__N_122pdist_kernel_cuda_implIdNS1_5distsIdE1pEEEvPT_PKS6_llS6_dd,comdat
	.globl	_ZN2at6native12_GLOBAL__N_122pdist_kernel_cuda_implIdNS1_5distsIdE1pEEEvPT_PKS6_llS6_dd ; -- Begin function _ZN2at6native12_GLOBAL__N_122pdist_kernel_cuda_implIdNS1_5distsIdE1pEEEvPT_PKS6_llS6_dd
	.p2align	8
	.type	_ZN2at6native12_GLOBAL__N_122pdist_kernel_cuda_implIdNS1_5distsIdE1pEEEvPT_PKS6_llS6_dd,@function
_ZN2at6native12_GLOBAL__N_122pdist_kernel_cuda_implIdNS1_5distsIdE1pEEEvPT_PKS6_llS6_dd: ; @_ZN2at6native12_GLOBAL__N_122pdist_kernel_cuda_implIdNS1_5distsIdE1pEEEvPT_PKS6_llS6_dd
; %bb.0:
	s_load_dwordx8 s[8:15], s[0:1], 0x0
	s_load_dwordx8 s[16:23], s[0:1], 0x20
	s_load_dword s33, s[0:1], 0x44
	s_mov_b32 s7, 0
	v_mov_b32_e32 v1, 0
	s_mov_b32 s3, s7
	s_waitcnt lgkmcnt(0)
	v_cmp_gt_i64_e32 vcc, s[14:15], v[0:1]
	v_mov_b64_e32 v[8:9], 0
	s_and_saveexec_b64 s[22:23], vcc
	s_cbranch_execz .LBB10_4
; %bb.1:
	s_lshl_b64 s[0:1], s[2:3], 1
	v_cvt_f64_u32_e32 v[2:3], s1
	v_ldexp_f64 v[2:3], v[2:3], 32
	v_cvt_f64_u32_e32 v[4:5], s0
	v_add_f64 v[2:3], v[2:3], v[4:5]
	s_mov_b32 s0, 0
	v_add_f64 v[2:3], s[20:21], -v[2:3]
	s_brev_b32 s1, 8
	v_cmp_gt_f64_e32 vcc, s[0:1], v[2:3]
	s_and_b64 s[0:1], vcc, exec
	s_cselect_b32 s0, 0x100, 0
	v_ldexp_f64 v[2:3], v[2:3], s0
	v_rsq_f64_e32 v[4:5], v[2:3]
	s_cselect_b32 s0, 0xffffff80, 0
	s_mov_b32 s24, 0xfefa39ef
	s_mov_b32 s26, 0x3b39803f
	v_mul_f64 v[6:7], v[2:3], v[4:5]
	v_mul_f64 v[4:5], v[4:5], 0.5
	v_fma_f64 v[8:9], -v[4:5], v[6:7], 0.5
	v_fmac_f64_e32 v[6:7], v[6:7], v[8:9]
	v_fma_f64 v[10:11], -v[6:7], v[6:7], v[2:3]
	v_fmac_f64_e32 v[4:5], v[4:5], v[8:9]
	v_fmac_f64_e32 v[6:7], v[10:11], v[4:5]
	v_fma_f64 v[8:9], -v[6:7], v[6:7], v[2:3]
	v_fmac_f64_e32 v[6:7], v[8:9], v[4:5]
	v_ldexp_f64 v[4:5], v[6:7], s0
	v_mov_b32_e32 v6, 0x260
	v_cmp_class_f64_e32 vcc, v[2:3], v6
	s_movk_i32 s0, 0xffe0
	v_lshlrev_b32_e32 v8, 3, v0
	v_cndmask_b32_e32 v3, v5, v3, vcc
	v_cndmask_b32_e32 v2, v4, v2, vcc
	v_add_f64 v[2:3], s[18:19], -v[2:3]
	v_trunc_f64_e32 v[2:3], v[2:3]
	v_ldexp_f64 v[4:5], v[2:3], s0
	v_floor_f64_e32 v[4:5], v[4:5]
	v_fmac_f64_e32 v[2:3], 0xc1f00000, v[4:5]
	v_cvt_u32_f64_e32 v2, v[2:3]
	v_cvt_i32_f64_e32 v3, v[4:5]
	v_mul_hi_u32 v5, s14, v2
	v_readfirstlane_b32 s5, v3
	v_mul_lo_u32 v3, s14, v3
	v_mul_lo_u32 v4, s15, v2
	v_add_u32_e32 v3, v5, v3
	v_readfirstlane_b32 s4, v2
	v_add_u32_e32 v3, v3, v4
	v_mul_lo_u32 v2, s14, v2
	v_lshlrev_b64 v[2:3], 3, v[2:3]
	v_lshl_add_u64 v[6:7], s[10:11], 0, v[2:3]
	s_lshl_b64 s[0:1], s[14:15], 3
	v_lshl_add_u64 v[4:5], v[6:7], 0, s[0:1]
	s_add_u32 s0, s4, 1
	s_addc_u32 s1, s5, 0
	s_add_u32 s6, s0, s2
	s_mul_hi_u32 s19, s12, s4
	s_mul_i32 s20, s12, s5
	s_addc_u32 s18, s1, 0
	s_mul_i32 s13, s13, s4
	s_add_i32 s19, s19, s20
	s_add_i32 s19, s19, s13
	s_mul_i32 s12, s12, s4
	s_sub_u32 s6, s6, s12
	s_mul_hi_u32 s13, s0, s4
	s_mul_i32 s5, s0, s5
	s_subb_u32 s12, s18, s19
	s_mul_i32 s1, s1, s4
	s_add_i32 s5, s13, s5
	s_add_i32 s5, s5, s1
	s_mul_i32 s0, s0, s4
	s_lshr_b32 s1, s5, 31
	s_add_u32 s0, s0, s1
	s_addc_u32 s1, s5, 0
	s_lshr_b64 s[0:1], s[0:1], 1
	s_add_u32 s0, s6, s0
	s_addc_u32 s1, s12, s1
	s_mul_i32 s1, s14, s1
	s_mul_hi_u32 s5, s14, s0
	s_add_i32 s1, s5, s1
	s_mul_i32 s5, s15, s0
	v_mov_b32_e32 v9, v1
	s_and_b32 s4, s33, 0xffff
	s_add_i32 s1, s1, s5
	s_mul_i32 s0, s14, s0
	s_mov_b32 s18, 0x55555555
	s_mov_b32 s20, 0x4222de17
	;; [unrolled: 1-line block ×8, first 2 shown]
	v_lshl_add_u64 v[6:7], v[6:7], 0, v[8:9]
	s_lshl_b64 s[12:13], s[0:1], 3
	v_lshl_add_u64 v[10:11], s[10:11], 0, v[8:9]
	s_lshl_b32 s10, s4, 3
	s_mov_b32 s11, s7
	v_mov_b64_e32 v[8:9], 0
	s_mov_b64 s[14:15], 0
	v_mov_b32_e32 v1, 0x3ff00000
	v_mov_b32_e32 v56, s17
	;; [unrolled: 1-line block ×3, first 2 shown]
	s_mov_b32 s19, 0x3fe55555
	v_mov_b32_e32 v12, 0x968915a9
	v_mov_b32_e32 v13, 0x3fba6564
	s_mov_b32 s21, 0x3fbdee67
	v_mov_b32_e32 v14, 0x3abe935a
	v_mov_b32_e32 v15, 0x3fbe25e4
	;; [unrolled: 1-line block ×4, first 2 shown]
	s_mov_b32 s25, 0x3fe62e42
	s_mov_b32 s27, 0x3c7abc9e
	;; [unrolled: 1-line block ×4, first 2 shown]
	s_movk_i32 s48, 0x204
	s_mov_b32 s35, 0x7ff00000
	s_mov_b32 s37, 0x3ff71547
	;; [unrolled: 1-line block ×7, first 2 shown]
	s_lshl_b32 s6, s4, 3
	v_mov_b32_e32 v18, 0xcfa74449
	v_mov_b32_e32 v19, 0x3fc3b13b
	;; [unrolled: 1-line block ×30, first 2 shown]
.LBB10_2:                               ; =>This Inner Loop Header: Depth=1
	v_lshl_add_u64 v[48:49], v[10:11], 0, v[2:3]
	v_lshl_add_u64 v[46:47], v[10:11], 0, s[12:13]
	global_load_dwordx2 v[50:51], v[48:49], off
	global_load_dwordx2 v[52:53], v[46:47], off
	v_mov_b64_e32 v[54:55], v[20:21]
	s_mov_b32 s28, s18
	s_mov_b32 s38, s24
	;; [unrolled: 1-line block ×3, first 2 shown]
	v_lshl_add_u64 v[6:7], v[6:7], 0, s[6:7]
	v_lshl_add_u64 v[10:11], v[10:11], 0, s[10:11]
	s_waitcnt vmcnt(0)
	v_add_f64 v[48:49], v[50:51], -v[52:53]
	v_cmp_neq_f64_e64 vcc, |v[48:49]|, 1.0
	s_nop 1
	v_cndmask_b32_e32 v47, v1, v56, vcc
	v_cndmask_b32_e32 v46, 0, v57, vcc
	v_cmp_neq_f64_e32 vcc, 0, v[46:47]
	v_cmp_neq_f64_e64 s[4:5], v[46:47], |v[46:47]|
	v_cmp_gt_f64_e64 s[0:1], 0, v[46:47]
	v_cndmask_b32_e32 v49, v1, v49, vcc
	v_cndmask_b32_e32 v48, 0, v48, vcc
	v_frexp_mant_f64_e64 v[50:51], |v[48:49]|
	v_cmp_gt_f64_e32 vcc, s[18:19], v[50:51]
	v_cmp_lt_f64_e64 s[50:51], |v[48:49]|, 1.0
	v_cmp_eq_f64_e64 s[54:55], |v[48:49]|, 0
	v_cndmask_b32_e64 v52, 0, 1, vcc
	v_ldexp_f64 v[50:51], v[50:51], v52
	v_add_f64 v[52:53], v[50:51], 1.0
	v_rcp_f64_e32 v[62:63], v[52:53]
	v_add_f64 v[64:65], v[52:53], -1.0
	v_add_f64 v[60:61], v[50:51], -1.0
	v_add_f64 v[50:51], v[50:51], -v[64:65]
	v_fma_f64 v[64:65], -v[52:53], v[62:63], 1.0
	v_fmac_f64_e32 v[62:63], v[64:65], v[62:63]
	v_fma_f64 v[64:65], -v[52:53], v[62:63], 1.0
	v_fmac_f64_e32 v[62:63], v[64:65], v[62:63]
	v_mul_f64 v[64:65], v[60:61], v[62:63]
	v_mul_f64 v[66:67], v[52:53], v[64:65]
	v_fma_f64 v[52:53], v[64:65], v[52:53], -v[66:67]
	v_fmac_f64_e32 v[52:53], v[64:65], v[50:51]
	v_add_f64 v[50:51], v[66:67], v[52:53]
	v_add_f64 v[66:67], v[50:51], -v[66:67]
	v_add_f64 v[52:53], v[66:67], -v[52:53]
	;; [unrolled: 1-line block ×5, first 2 shown]
	v_add_f64 v[50:51], v[52:53], v[50:51]
	v_add_f64 v[50:51], v[66:67], v[50:51]
	v_mul_f64 v[50:51], v[62:63], v[50:51]
	v_add_f64 v[52:53], v[64:65], v[50:51]
	v_add_f64 v[62:63], v[52:53], -v[64:65]
	v_mul_f64 v[64:65], v[52:53], v[52:53]
	v_add_f64 v[50:51], v[50:51], -v[62:63]
	v_fma_f64 v[62:63], v[52:53], v[52:53], -v[64:65]
	v_add_f64 v[66:67], v[50:51], v[50:51]
	v_fmac_f64_e32 v[62:63], v[52:53], v[66:67]
	v_add_f64 v[66:67], v[64:65], v[62:63]
	v_add_f64 v[64:65], v[66:67], -v[64:65]
	v_add_f64 v[62:63], v[62:63], -v[64:65]
	v_fma_f64 v[64:65], s[20:21], v[66:67], v[12:13]
	v_fma_f64 v[64:65], v[66:67], v[64:65], v[14:15]
	;; [unrolled: 1-line block ×4, first 2 shown]
	v_mov_b64_e32 v[60:61], v[22:23]
	v_fmac_f64_e32 v[54:55], v[66:67], v[64:65]
	v_mov_b64_e32 v[64:65], v[24:25]
	v_fmac_f64_e32 v[60:61], v[66:67], v[54:55]
	;; [unrolled: 2-line block ×3, first 2 shown]
	v_mul_f64 v[60:61], v[52:53], v[66:67]
	v_fmac_f64_e32 v[54:55], v[66:67], v[64:65]
	v_fma_f64 v[64:65], v[66:67], v[52:53], -v[60:61]
	v_mul_f64 v[68:69], v[66:67], v[54:55]
	v_fmac_f64_e32 v[64:65], v[66:67], v[50:51]
	v_fma_f64 v[66:67], v[66:67], v[54:55], -v[68:69]
	v_fmac_f64_e32 v[66:67], v[62:63], v[54:55]
	v_add_f64 v[54:55], v[68:69], v[66:67]
	v_fmac_f64_e32 v[64:65], v[62:63], v[52:53]
	v_add_f64 v[62:63], v[54:55], -v[68:69]
	v_add_f64 v[62:63], v[66:67], -v[62:63]
	v_add_f64 v[66:67], v[54:55], s[18:19]
	v_add_f64 v[68:69], v[66:67], s[28:29]
	v_add_f64 v[54:55], v[54:55], -v[68:69]
	v_add_f64 v[62:63], v[62:63], s[30:31]
	v_add_f64 v[54:55], v[62:63], v[54:55]
	;; [unrolled: 1-line block ×3, first 2 shown]
	v_add_f64 v[66:67], v[66:67], -v[62:63]
	v_add_f64 v[54:55], v[54:55], v[66:67]
	v_add_f64 v[66:67], v[60:61], v[64:65]
	v_mul_f64 v[68:69], v[66:67], v[62:63]
	v_fma_f64 v[70:71], v[66:67], v[62:63], -v[68:69]
	v_fmac_f64_e32 v[70:71], v[66:67], v[54:55]
	v_add_f64 v[54:55], v[66:67], -v[60:61]
	v_frexp_exp_i32_f64_e32 v60, v[48:49]
	v_subbrev_co_u32_e32 v60, vcc, 0, v60, vcc
	v_add_f64 v[54:55], v[64:65], -v[54:55]
	v_cvt_f64_i32_e32 v[60:61], v60
	v_fmac_f64_e32 v[70:71], v[54:55], v[62:63]
	v_mul_f64 v[54:55], v[60:61], s[24:25]
	v_fma_f64 v[62:63], v[60:61], s[24:25], -v[54:55]
	v_fmac_f64_e32 v[62:63], s[26:27], v[60:61]
	v_add_f64 v[60:61], v[54:55], v[62:63]
	v_add_f64 v[54:55], v[60:61], -v[54:55]
	v_add_f64 v[54:55], v[62:63], -v[54:55]
	v_ldexp_f64 v[52:53], v[52:53], 1
	v_add_f64 v[62:63], v[68:69], v[70:71]
	v_add_f64 v[64:65], v[62:63], -v[68:69]
	v_add_f64 v[66:67], v[52:53], v[62:63]
	v_add_f64 v[64:65], v[70:71], -v[64:65]
	v_add_f64 v[52:53], v[66:67], -v[52:53]
	v_ldexp_f64 v[50:51], v[50:51], 1
	v_add_f64 v[52:53], v[62:63], -v[52:53]
	v_add_f64 v[50:51], v[50:51], v[64:65]
	v_add_f64 v[50:51], v[50:51], v[52:53]
	;; [unrolled: 1-line block ×3, first 2 shown]
	v_add_f64 v[64:65], v[52:53], -v[66:67]
	v_add_f64 v[66:67], v[60:61], v[52:53]
	v_add_f64 v[50:51], v[50:51], -v[64:65]
	v_add_f64 v[64:65], v[66:67], -v[60:61]
	;; [unrolled: 1-line block ×5, first 2 shown]
	v_add_f64 v[64:65], v[54:55], v[50:51]
	v_add_f64 v[52:53], v[52:53], v[60:61]
	v_add_f64 v[60:61], v[64:65], -v[54:55]
	v_add_f64 v[50:51], v[50:51], -v[60:61]
	;; [unrolled: 1-line block ×4, first 2 shown]
	v_add_f64 v[52:53], v[64:65], v[52:53]
	v_add_f64 v[50:51], v[50:51], v[54:55]
	;; [unrolled: 1-line block ×3, first 2 shown]
	v_add_f64 v[66:67], v[54:55], -v[66:67]
	v_add_f64 v[52:53], v[52:53], -v[66:67]
	v_add_f64 v[50:51], v[50:51], v[52:53]
	v_add_f64 v[52:53], v[54:55], v[50:51]
	v_add_f64 v[54:55], v[52:53], -v[54:55]
	v_mul_f64 v[66:67], v[46:47], v[52:53]
	v_add_f64 v[50:51], v[50:51], -v[54:55]
	v_fma_f64 v[52:53], v[46:47], v[52:53], -v[66:67]
	v_fmac_f64_e32 v[52:53], v[46:47], v[50:51]
	v_add_f64 v[50:51], v[66:67], v[52:53]
	v_cmp_class_f64_e64 vcc, v[66:67], s48
	v_mov_b64_e32 v[62:63], v[28:29]
	v_mov_b64_e32 v[60:61], v[30:31]
	v_cndmask_b32_e32 v55, v51, v67, vcc
	v_cndmask_b32_e32 v54, v50, v66, vcc
	v_add_f64 v[50:51], v[50:51], -v[66:67]
	v_add_f64 v[50:51], v[52:53], -v[50:51]
	v_mul_f64 v[52:53], v[54:55], s[36:37]
	v_rndne_f64_e32 v[52:53], v[52:53]
	v_fma_f64 v[66:67], s[38:39], v[52:53], v[54:55]
	v_fmac_f64_e32 v[66:67], s[40:41], v[52:53]
	v_fmac_f64_e32 v[62:63], s[42:43], v[66:67]
	v_mov_b64_e32 v[64:65], v[32:33]
	v_fmac_f64_e32 v[60:61], v[66:67], v[62:63]
	v_mov_b64_e32 v[62:63], v[34:35]
	;; [unrolled: 2-line block ×7, first 2 shown]
	v_fmac_f64_e32 v[60:61], v[66:67], v[62:63]
	v_fmac_f64_e32 v[64:65], v[66:67], v[60:61]
	s_xor_b64 s[0:1], s[0:1], s[54:55]
	s_xor_b64 s[4:5], s[4:5], s[50:51]
	v_cvt_i32_f64_e32 v69, v[52:53]
	v_fma_f64 v[52:53], v[66:67], v[64:65], 1.0
	v_cndmask_b32_e64 v68, v58, 0, s[4:5]
	v_cndmask_b32_e64 v70, v58, 0, s[0:1]
	v_cmp_neq_f64_e64 s[0:1], |v[48:49]|, 1.0
	v_fma_f64 v[52:53], v[66:67], v[52:53], 1.0
	v_ldexp_f64 v[52:53], v[52:53], v69
	v_cndmask_b32_e64 v68, v1, v68, s[0:1]
	v_cmp_nlt_f64_e64 s[0:1], s[44:45], v[54:55]
	v_cmp_ngt_f64_e64 s[4:5], s[46:47], v[54:55]
	v_cmp_neq_f64_e64 vcc, |v[54:55]|, s[34:35]
	v_cndmask_b32_e64 v53, v58, v53, s[0:1]
	s_and_b64 s[0:1], s[4:5], s[0:1]
	v_cndmask_b32_e64 v53, 0, v53, s[4:5]
	v_cndmask_b32_e64 v52, 0, v52, s[0:1]
	v_cndmask_b32_e32 v51, 0, v51, vcc
	v_cndmask_b32_e32 v50, 0, v50, vcc
	v_mov_b64_e32 v[54:55], v[52:53]
	v_fmac_f64_e32 v[54:55], v[54:55], v[50:51]
	v_cmp_class_f64_e64 s[0:1], v[52:53], s48
	v_cmp_class_f64_e64 s[52:53], v[48:49], s48
	s_or_b64 s[4:5], s[54:55], s[52:53]
	v_cndmask_b32_e64 v50, v55, v53, s[0:1]
	v_cndmask_b32_e64 v51, v54, v52, s[0:1]
	v_and_b32_e32 v50, 0x7fffffff, v50
	v_cmp_class_f64_e64 s[0:1], v[46:47], s48
	v_cmp_ge_u64_e32 vcc, v[6:7], v[4:5]
	s_nop 0
	v_cndmask_b32_e64 v50, v50, v68, s[0:1]
	s_or_b64 s[0:1], s[4:5], s[0:1]
	v_cndmask_b32_e64 v50, v50, v70, s[4:5]
	v_cndmask_b32_e64 v51, v51, 0, s[0:1]
	v_cmp_o_f64_e64 s[0:1], |v[48:49]|, v[46:47]
	s_or_b64 s[14:15], vcc, s[14:15]
	s_nop 0
	v_cndmask_b32_e64 v46, 0, v51, s[0:1]
	v_cndmask_b32_e64 v47, v59, v50, s[0:1]
	v_add_f64 v[8:9], v[8:9], v[46:47]
	s_andn2_b64 exec, exec, s[14:15]
	s_cbranch_execnz .LBB10_2
; %bb.3:
	s_or_b64 exec, exec, s[14:15]
.LBB10_4:
	s_or_b64 exec, exec, s[22:23]
	v_mbcnt_lo_u32_b32 v1, -1, 0
	v_mbcnt_hi_u32_b32 v10, -1, v1
	v_mov_b32_e32 v1, 0x80
	v_lshl_or_b32 v1, v10, 2, v1
	ds_bpermute_b32 v2, v1, v8
	ds_bpermute_b32 v3, v1, v9
	v_and_b32_e32 v12, 63, v10
	v_cmp_gt_u32_e32 vcc, 48, v12
	v_and_b32_e32 v11, 63, v0
	s_waitcnt lgkmcnt(0)
	v_cndmask_b32_e64 v4, 0, 16, vcc
	v_add_f64 v[2:3], v[8:9], v[2:3]
	v_add_lshl_u32 v6, v4, v10, 2
	ds_bpermute_b32 v4, v6, v2
	ds_bpermute_b32 v5, v6, v3
	v_cmp_gt_u32_e32 vcc, 56, v12
	s_barrier
	s_waitcnt lgkmcnt(0)
	v_add_f64 v[2:3], v[2:3], v[4:5]
	v_cndmask_b32_e64 v4, 0, 8, vcc
	v_add_lshl_u32 v7, v4, v10, 2
	ds_bpermute_b32 v4, v7, v2
	ds_bpermute_b32 v5, v7, v3
	v_cmp_gt_u32_e32 vcc, 60, v12
	s_waitcnt lgkmcnt(0)
	v_add_f64 v[2:3], v[2:3], v[4:5]
	v_cndmask_b32_e64 v4, 0, 4, vcc
	v_add_lshl_u32 v8, v4, v10, 2
	ds_bpermute_b32 v4, v8, v2
	ds_bpermute_b32 v5, v8, v3
	v_cmp_gt_u32_e32 vcc, 62, v12
	s_waitcnt lgkmcnt(0)
	v_add_f64 v[2:3], v[2:3], v[4:5]
	v_cndmask_b32_e64 v4, 0, 2, vcc
	v_add_lshl_u32 v9, v4, v10, 2
	ds_bpermute_b32 v4, v9, v2
	ds_bpermute_b32 v5, v9, v3
	v_cmp_ne_u32_e32 vcc, 63, v12
	s_waitcnt lgkmcnt(0)
	v_add_f64 v[2:3], v[2:3], v[4:5]
	v_addc_co_u32_e32 v4, vcc, 0, v10, vcc
	v_lshlrev_b32_e32 v10, 2, v4
	ds_bpermute_b32 v4, v10, v2
	ds_bpermute_b32 v5, v10, v3
	v_cmp_eq_u32_e32 vcc, 0, v11
	s_and_saveexec_b64 s[0:1], vcc
	s_cbranch_execz .LBB10_6
; %bb.5:
	v_lshrrev_b32_e32 v12, 3, v0
	s_waitcnt lgkmcnt(0)
	v_add_f64 v[2:3], v[2:3], v[4:5]
	ds_write_b64 v12, v[2:3]
.LBB10_6:
	s_or_b64 exec, exec, s[0:1]
	s_and_b32 s0, 0xffff, s33
	s_lshr_b32 s0, s0, 6
	v_cmp_gt_u32_e32 vcc, s0, v0
	v_mov_b64_e32 v[2:3], 0
	s_waitcnt lgkmcnt(0)
	s_barrier
	s_and_saveexec_b64 s[0:1], vcc
	s_cbranch_execnz .LBB10_10
; %bb.7:
	s_or_b64 exec, exec, s[0:1]
	v_cmp_gt_u32_e32 vcc, 64, v0
	s_and_saveexec_b64 s[0:1], vcc
	s_cbranch_execnz .LBB10_11
.LBB10_8:
	s_or_b64 exec, exec, s[0:1]
	v_cmp_eq_u32_e32 vcc, 0, v0
	s_and_saveexec_b64 s[0:1], vcc
	s_cbranch_execnz .LBB10_12
.LBB10_9:
	s_endpgm
.LBB10_10:
	v_lshlrev_b32_e32 v2, 3, v11
	ds_read_b64 v[2:3], v2
	s_or_b64 exec, exec, s[0:1]
	v_cmp_gt_u32_e32 vcc, 64, v0
	s_and_saveexec_b64 s[0:1], vcc
	s_cbranch_execz .LBB10_8
.LBB10_11:
	s_waitcnt lgkmcnt(0)
	ds_bpermute_b32 v4, v1, v2
	ds_bpermute_b32 v5, v1, v3
	s_waitcnt lgkmcnt(0)
	v_add_f64 v[2:3], v[2:3], v[4:5]
	ds_bpermute_b32 v4, v6, v2
	ds_bpermute_b32 v5, v6, v3
	s_waitcnt lgkmcnt(0)
	v_add_f64 v[2:3], v[2:3], v[4:5]
	ds_bpermute_b32 v4, v7, v2
	ds_bpermute_b32 v5, v7, v3
	s_waitcnt lgkmcnt(0)
	v_add_f64 v[2:3], v[2:3], v[4:5]
	ds_bpermute_b32 v4, v8, v2
	ds_bpermute_b32 v5, v8, v3
	s_waitcnt lgkmcnt(0)
	v_add_f64 v[2:3], v[2:3], v[4:5]
	ds_bpermute_b32 v4, v9, v2
	ds_bpermute_b32 v5, v9, v3
	s_waitcnt lgkmcnt(0)
	v_add_f64 v[2:3], v[2:3], v[4:5]
	ds_bpermute_b32 v4, v10, v2
	ds_bpermute_b32 v5, v10, v3
	s_waitcnt lgkmcnt(0)
	v_add_f64 v[2:3], v[2:3], v[4:5]
	s_or_b64 exec, exec, s[0:1]
	v_cmp_eq_u32_e32 vcc, 0, v0
	s_and_saveexec_b64 s[0:1], vcc
	s_cbranch_execz .LBB10_9
.LBB10_12:
	v_div_scale_f64 v[0:1], s[0:1], s[16:17], s[16:17], 1.0
	v_rcp_f64_e32 v[4:5], v[0:1]
	v_div_scale_f64 v[6:7], vcc, 1.0, s[16:17], 1.0
	s_mov_b32 s1, 0x3fe55555
	v_fma_f64 v[8:9], -v[0:1], v[4:5], 1.0
	v_fmac_f64_e32 v[4:5], v[4:5], v[8:9]
	v_fma_f64 v[8:9], -v[0:1], v[4:5], 1.0
	v_fmac_f64_e32 v[4:5], v[4:5], v[8:9]
	v_mul_f64 v[8:9], v[6:7], v[4:5]
	v_fma_f64 v[0:1], -v[0:1], v[8:9], v[6:7]
	v_div_fmas_f64 v[0:1], v[0:1], v[4:5], v[8:9]
	v_div_fixup_f64 v[0:1], v[0:1], s[16:17], 1.0
	v_mov_b32_e32 v4, 0x3ff00000
	s_waitcnt lgkmcnt(0)
	v_cmp_neq_f64_e32 vcc, 1.0, v[2:3]
	s_mov_b32 s0, 0x55555555
	s_mov_b32 s4, 0x4222de17
	v_cndmask_b32_e32 v1, v4, v1, vcc
	v_cndmask_b32_e32 v0, 0, v0, vcc
	v_cmp_neq_f64_e32 vcc, 0, v[0:1]
	s_mov_b32 s5, 0x3fbdee67
	s_mov_b32 s7, 0x3c7abc9e
	v_cndmask_b32_e32 v3, v4, v3, vcc
	v_cndmask_b32_e32 v2, 0, v2, vcc
	v_frexp_mant_f64_e64 v[6:7], |v[2:3]|
	v_cmp_gt_f64_e32 vcc, s[0:1], v[6:7]
	v_frexp_exp_i32_f64_e32 v5, v[2:3]
	s_mov_b32 s6, 0x3b39803f
	v_cndmask_b32_e64 v8, 0, 1, vcc
	v_ldexp_f64 v[6:7], v[6:7], v8
	v_add_f64 v[8:9], v[6:7], 1.0
	v_rcp_f64_e32 v[10:11], v[8:9]
	v_add_f64 v[14:15], v[8:9], -1.0
	v_add_f64 v[12:13], v[6:7], -1.0
	v_add_f64 v[6:7], v[6:7], -v[14:15]
	v_fma_f64 v[14:15], -v[8:9], v[10:11], 1.0
	v_fmac_f64_e32 v[10:11], v[14:15], v[10:11]
	v_fma_f64 v[14:15], -v[8:9], v[10:11], 1.0
	v_fmac_f64_e32 v[10:11], v[14:15], v[10:11]
	v_mul_f64 v[14:15], v[12:13], v[10:11]
	v_mul_f64 v[16:17], v[8:9], v[14:15]
	v_fma_f64 v[8:9], v[14:15], v[8:9], -v[16:17]
	v_fmac_f64_e32 v[8:9], v[14:15], v[6:7]
	v_add_f64 v[6:7], v[16:17], v[8:9]
	v_add_f64 v[18:19], v[12:13], -v[6:7]
	v_add_f64 v[16:17], v[6:7], -v[16:17]
	;; [unrolled: 1-line block ×5, first 2 shown]
	v_add_f64 v[6:7], v[8:9], v[6:7]
	v_add_f64 v[6:7], v[18:19], v[6:7]
	v_mul_f64 v[6:7], v[10:11], v[6:7]
	v_add_f64 v[8:9], v[14:15], v[6:7]
	v_add_f64 v[10:11], v[8:9], -v[14:15]
	v_add_f64 v[6:7], v[6:7], -v[10:11]
	v_mul_f64 v[10:11], v[8:9], v[8:9]
	v_fma_f64 v[12:13], v[8:9], v[8:9], -v[10:11]
	v_add_f64 v[14:15], v[6:7], v[6:7]
	v_fmac_f64_e32 v[12:13], v[8:9], v[14:15]
	v_add_f64 v[14:15], v[10:11], v[12:13]
	v_add_f64 v[10:11], v[14:15], -v[10:11]
	v_add_f64 v[10:11], v[12:13], -v[10:11]
	v_mov_b32_e32 v12, 0x968915a9
	v_mov_b32_e32 v13, 0x3fba6564
	v_fmac_f64_e32 v[12:13], s[4:5], v[14:15]
	v_mov_b32_e32 v16, 0x3abe935a
	v_mov_b32_e32 v17, 0x3fbe25e4
	v_fmac_f64_e32 v[16:17], v[14:15], v[12:13]
	;; [unrolled: 3-line block ×6, first 2 shown]
	v_mov_b32_e32 v12, 0x924920da
	v_mov_b32_e32 v13, 0x3fd24924
	v_subbrev_co_u32_e32 v5, vcc, 0, v5, vcc
	v_fmac_f64_e32 v[12:13], v[14:15], v[16:17]
	v_mov_b32_e32 v16, 0x9999999c
	v_mov_b32_e32 v17, 0x3fd99999
	v_fmac_f64_e32 v[16:17], v[14:15], v[12:13]
	v_cvt_f64_i32_e32 v[12:13], v5
	s_mov_b32 s5, 0x3fe62e42
	s_mov_b32 s4, 0xfefa39ef
	v_mul_f64 v[18:19], v[12:13], s[4:5]
	v_mul_f64 v[24:25], v[8:9], v[14:15]
	v_fma_f64 v[20:21], v[12:13], s[4:5], -v[18:19]
	v_fma_f64 v[26:27], v[14:15], v[8:9], -v[24:25]
	v_fmac_f64_e32 v[20:21], s[6:7], v[12:13]
	v_fmac_f64_e32 v[26:27], v[14:15], v[6:7]
	v_add_f64 v[12:13], v[18:19], v[20:21]
	v_fmac_f64_e32 v[26:27], v[10:11], v[8:9]
	v_add_f64 v[18:19], v[12:13], -v[18:19]
	v_ldexp_f64 v[22:23], v[6:7], 1
	v_add_f64 v[6:7], v[24:25], v[26:27]
	v_add_f64 v[18:19], v[20:21], -v[18:19]
	v_ldexp_f64 v[20:21], v[8:9], 1
	v_add_f64 v[8:9], v[6:7], -v[24:25]
	v_mul_f64 v[24:25], v[14:15], v[16:17]
	v_fma_f64 v[14:15], v[14:15], v[16:17], -v[24:25]
	v_fmac_f64_e32 v[14:15], v[10:11], v[16:17]
	v_add_f64 v[10:11], v[24:25], v[14:15]
	v_add_f64 v[16:17], v[10:11], -v[24:25]
	v_add_f64 v[14:15], v[14:15], -v[16:17]
	v_add_f64 v[16:17], v[10:11], s[0:1]
	s_mov_b32 s1, 0xbfe55555
	v_add_f64 v[24:25], v[16:17], s[0:1]
	s_mov_b32 s0, 0xd5df274d
	s_mov_b32 s1, 0x3c8543b0
	v_add_f64 v[10:11], v[10:11], -v[24:25]
	v_add_f64 v[14:15], v[14:15], s[0:1]
	v_add_f64 v[10:11], v[14:15], v[10:11]
	;; [unrolled: 1-line block ×3, first 2 shown]
	v_add_f64 v[16:17], v[16:17], -v[14:15]
	v_add_f64 v[10:11], v[10:11], v[16:17]
	v_mul_f64 v[16:17], v[6:7], v[14:15]
	v_fma_f64 v[24:25], v[6:7], v[14:15], -v[16:17]
	v_add_f64 v[8:9], v[26:27], -v[8:9]
	v_fmac_f64_e32 v[24:25], v[6:7], v[10:11]
	v_fmac_f64_e32 v[24:25], v[8:9], v[14:15]
	v_add_f64 v[6:7], v[16:17], v[24:25]
	v_add_f64 v[8:9], v[6:7], -v[16:17]
	v_add_f64 v[10:11], v[20:21], v[6:7]
	v_add_f64 v[8:9], v[24:25], -v[8:9]
	v_add_f64 v[14:15], v[10:11], -v[20:21]
	;; [unrolled: 1-line block ×3, first 2 shown]
	v_add_f64 v[8:9], v[22:23], v[8:9]
	v_add_f64 v[6:7], v[8:9], v[6:7]
	;; [unrolled: 1-line block ×3, first 2 shown]
	v_add_f64 v[10:11], v[8:9], -v[10:11]
	v_add_f64 v[6:7], v[6:7], -v[10:11]
	v_add_f64 v[10:11], v[12:13], v[8:9]
	v_add_f64 v[14:15], v[10:11], -v[12:13]
	v_add_f64 v[16:17], v[10:11], -v[14:15]
	;; [unrolled: 1-line block ×4, first 2 shown]
	v_add_f64 v[8:9], v[8:9], v[12:13]
	v_add_f64 v[12:13], v[18:19], v[6:7]
	v_add_f64 v[14:15], v[12:13], -v[18:19]
	v_add_f64 v[8:9], v[12:13], v[8:9]
	v_add_f64 v[16:17], v[12:13], -v[14:15]
	;; [unrolled: 2-line block ×3, first 2 shown]
	v_add_f64 v[6:7], v[6:7], -v[14:15]
	v_add_f64 v[10:11], v[12:13], -v[10:11]
	v_add_f64 v[6:7], v[6:7], v[16:17]
	v_add_f64 v[8:9], v[8:9], -v[10:11]
	v_add_f64 v[6:7], v[6:7], v[8:9]
	v_add_f64 v[8:9], v[12:13], v[6:7]
	v_add_f64 v[10:11], v[8:9], -v[12:13]
	v_add_f64 v[6:7], v[6:7], -v[10:11]
	v_mul_f64 v[10:11], v[0:1], v[8:9]
	v_fma_f64 v[8:9], v[0:1], v[8:9], -v[10:11]
	v_fmac_f64_e32 v[8:9], v[0:1], v[6:7]
	s_movk_i32 s10, 0x204
	v_add_f64 v[6:7], v[10:11], v[8:9]
	v_cmp_class_f64_e64 vcc, v[10:11], s10
	s_mov_b32 s0, 0
	v_add_f64 v[12:13], v[6:7], -v[10:11]
	v_cndmask_b32_e32 v7, v7, v11, vcc
	v_cndmask_b32_e32 v6, v6, v10, vcc
	s_mov_b32 s1, 0x7ff00000
	v_cmp_neq_f64_e64 vcc, |v[6:7]|, s[0:1]
	s_mov_b32 s0, 0x652b82fe
	s_mov_b32 s1, 0x3ff71547
	v_mul_f64 v[10:11], v[6:7], s[0:1]
	v_rndne_f64_e32 v[10:11], v[10:11]
	s_mov_b32 s5, 0xbfe62e42
	v_add_f64 v[8:9], v[8:9], -v[12:13]
	v_fma_f64 v[12:13], s[4:5], v[10:11], v[6:7]
	s_mov_b32 s7, 0xbc7abc9e
	s_mov_b32 s0, 0x6a5dcb37
	v_fmac_f64_e32 v[12:13], s[6:7], v[10:11]
	v_mov_b32_e32 v14, 0xfca7ab0c
	v_mov_b32_e32 v15, 0x3e928af3
	s_mov_b32 s1, 0x3e5ade15
	v_fmac_f64_e32 v[14:15], s[0:1], v[12:13]
	v_mov_b32_e32 v16, 0x623fde64
	v_mov_b32_e32 v17, 0x3ec71dee
	v_fmac_f64_e32 v[16:17], v[12:13], v[14:15]
	v_mov_b32_e32 v14, 0x7c89e6b0
	v_mov_b32_e32 v15, 0x3efa0199
	;; [unrolled: 3-line block ×8, first 2 shown]
	s_mov_b32 s0, 0
	v_fmac_f64_e32 v[14:15], v[12:13], v[16:17]
	s_mov_b32 s1, 0x40900000
	v_cndmask_b32_e32 v9, 0, v9, vcc
	v_cndmask_b32_e32 v8, 0, v8, vcc
	v_fma_f64 v[14:15], v[12:13], v[14:15], 1.0
	v_cmp_nlt_f64_e32 vcc, s[0:1], v[6:7]
	s_mov_b32 s0, 0
	v_fma_f64 v[12:13], v[12:13], v[14:15], 1.0
	v_cvt_i32_f64_e32 v5, v[10:11]
	s_mov_b32 s1, 0xc090cc00
	v_ldexp_f64 v[10:11], v[12:13], v5
	v_mov_b32_e32 v5, 0x7ff00000
	v_cmp_ngt_f64_e64 s[0:1], s[0:1], v[6:7]
	v_cndmask_b32_e32 v11, v5, v11, vcc
	s_and_b64 vcc, s[0:1], vcc
	v_cndmask_b32_e64 v7, 0, v11, s[0:1]
	v_cndmask_b32_e32 v6, 0, v10, vcc
	v_mov_b64_e32 v[10:11], v[6:7]
	v_fmac_f64_e32 v[10:11], v[10:11], v[8:9]
	v_cmp_class_f64_e64 vcc, v[6:7], s10
	s_brev_b32 s12, -2
	v_mov_b32_e32 v12, 0x7ff80000
	v_cndmask_b32_e32 v10, v10, v6, vcc
	v_cndmask_b32_e32 v11, v11, v7, vcc
	v_trunc_f64_e32 v[6:7], v[0:1]
	v_cmp_eq_f64_e32 vcc, v[6:7], v[0:1]
	v_mul_f64 v[6:7], v[0:1], 0.5
	v_trunc_f64_e32 v[8:9], v[6:7]
	v_cmp_neq_f64_e64 s[0:1], v[8:9], v[6:7]
	s_and_b64 s[0:1], vcc, s[0:1]
	v_cmp_neq_f64_e64 s[4:5], v[0:1], |v[0:1]|
	v_cndmask_b32_e64 v6, v4, v3, s[0:1]
	v_bfi_b32 v6, s12, v11, v6
	v_cmp_lt_f64_e64 s[6:7], |v[2:3]|, 1.0
	v_cndmask_b32_e32 v7, v12, v6, vcc
	v_cndmask_b32_e32 v8, 0, v10, vcc
	v_cmp_gt_f64_e32 vcc, 0, v[2:3]
	s_xor_b64 s[4:5], s[4:5], s[6:7]
	v_cmp_gt_f64_e64 s[6:7], 0, v[0:1]
	v_cndmask_b32_e32 v8, v10, v8, vcc
	v_cndmask_b32_e32 v6, v6, v7, vcc
	v_cndmask_b32_e64 v7, v5, 0, s[4:5]
	v_cmp_neq_f64_e64 vcc, |v[2:3]|, 1.0
	v_cmp_eq_f64_e64 s[4:5], 0, v[2:3]
	s_xor_b64 s[6:7], s[6:7], s[4:5]
	v_cndmask_b32_e32 v4, v4, v7, vcc
	v_cmp_class_f64_e64 vcc, v[0:1], s10
	v_cmp_class_f64_e64 s[10:11], v[2:3], s10
	v_cndmask_b32_e64 v5, v5, 0, s[6:7]
	v_cndmask_b32_e32 v4, v6, v4, vcc
	v_cndmask_b32_e64 v6, 0, v3, s[0:1]
	v_bfi_b32 v5, s12, v5, v6
	s_or_b64 s[0:1], s[4:5], s[10:11]
	v_cndmask_b32_e64 v4, v4, v5, s[0:1]
	s_or_b64 s[0:1], s[0:1], vcc
	v_cndmask_b32_e64 v5, v8, 0, s[0:1]
	s_lshl_b64 s[0:1], s[2:3], 3
	v_cmp_o_f64_e32 vcc, v[2:3], v[0:1]
	s_add_u32 s0, s8, s0
	s_addc_u32 s1, s9, s1
	v_cndmask_b32_e32 v0, 0, v5, vcc
	v_cndmask_b32_e32 v1, v12, v4, vcc
	v_mov_b32_e32 v2, 0
	global_store_dwordx2 v2, v[0:1], s[0:1]
	s_endpgm
	.section	.rodata,"a",@progbits
	.p2align	6, 0x0
	.amdhsa_kernel _ZN2at6native12_GLOBAL__N_122pdist_kernel_cuda_implIdNS1_5distsIdE1pEEEvPT_PKS6_llS6_dd
		.amdhsa_group_segment_fixed_size 2048
		.amdhsa_private_segment_fixed_size 0
		.amdhsa_kernarg_size 312
		.amdhsa_user_sgpr_count 2
		.amdhsa_user_sgpr_dispatch_ptr 0
		.amdhsa_user_sgpr_queue_ptr 0
		.amdhsa_user_sgpr_kernarg_segment_ptr 1
		.amdhsa_user_sgpr_dispatch_id 0
		.amdhsa_user_sgpr_kernarg_preload_length 0
		.amdhsa_user_sgpr_kernarg_preload_offset 0
		.amdhsa_user_sgpr_private_segment_size 0
		.amdhsa_uses_dynamic_stack 0
		.amdhsa_enable_private_segment 0
		.amdhsa_system_sgpr_workgroup_id_x 1
		.amdhsa_system_sgpr_workgroup_id_y 0
		.amdhsa_system_sgpr_workgroup_id_z 0
		.amdhsa_system_sgpr_workgroup_info 0
		.amdhsa_system_vgpr_workitem_id 0
		.amdhsa_next_free_vgpr 72
		.amdhsa_next_free_sgpr 56
		.amdhsa_accum_offset 72
		.amdhsa_reserve_vcc 1
		.amdhsa_float_round_mode_32 0
		.amdhsa_float_round_mode_16_64 0
		.amdhsa_float_denorm_mode_32 3
		.amdhsa_float_denorm_mode_16_64 3
		.amdhsa_dx10_clamp 1
		.amdhsa_ieee_mode 1
		.amdhsa_fp16_overflow 0
		.amdhsa_tg_split 0
		.amdhsa_exception_fp_ieee_invalid_op 0
		.amdhsa_exception_fp_denorm_src 0
		.amdhsa_exception_fp_ieee_div_zero 0
		.amdhsa_exception_fp_ieee_overflow 0
		.amdhsa_exception_fp_ieee_underflow 0
		.amdhsa_exception_fp_ieee_inexact 0
		.amdhsa_exception_int_div_zero 0
	.end_amdhsa_kernel
	.section	.text._ZN2at6native12_GLOBAL__N_122pdist_kernel_cuda_implIdNS1_5distsIdE1pEEEvPT_PKS6_llS6_dd,"axG",@progbits,_ZN2at6native12_GLOBAL__N_122pdist_kernel_cuda_implIdNS1_5distsIdE1pEEEvPT_PKS6_llS6_dd,comdat
.Lfunc_end10:
	.size	_ZN2at6native12_GLOBAL__N_122pdist_kernel_cuda_implIdNS1_5distsIdE1pEEEvPT_PKS6_llS6_dd, .Lfunc_end10-_ZN2at6native12_GLOBAL__N_122pdist_kernel_cuda_implIdNS1_5distsIdE1pEEEvPT_PKS6_llS6_dd
                                        ; -- End function
	.set _ZN2at6native12_GLOBAL__N_122pdist_kernel_cuda_implIdNS1_5distsIdE1pEEEvPT_PKS6_llS6_dd.num_vgpr, 72
	.set _ZN2at6native12_GLOBAL__N_122pdist_kernel_cuda_implIdNS1_5distsIdE1pEEEvPT_PKS6_llS6_dd.num_agpr, 0
	.set _ZN2at6native12_GLOBAL__N_122pdist_kernel_cuda_implIdNS1_5distsIdE1pEEEvPT_PKS6_llS6_dd.numbered_sgpr, 56
	.set _ZN2at6native12_GLOBAL__N_122pdist_kernel_cuda_implIdNS1_5distsIdE1pEEEvPT_PKS6_llS6_dd.num_named_barrier, 0
	.set _ZN2at6native12_GLOBAL__N_122pdist_kernel_cuda_implIdNS1_5distsIdE1pEEEvPT_PKS6_llS6_dd.private_seg_size, 0
	.set _ZN2at6native12_GLOBAL__N_122pdist_kernel_cuda_implIdNS1_5distsIdE1pEEEvPT_PKS6_llS6_dd.uses_vcc, 1
	.set _ZN2at6native12_GLOBAL__N_122pdist_kernel_cuda_implIdNS1_5distsIdE1pEEEvPT_PKS6_llS6_dd.uses_flat_scratch, 0
	.set _ZN2at6native12_GLOBAL__N_122pdist_kernel_cuda_implIdNS1_5distsIdE1pEEEvPT_PKS6_llS6_dd.has_dyn_sized_stack, 0
	.set _ZN2at6native12_GLOBAL__N_122pdist_kernel_cuda_implIdNS1_5distsIdE1pEEEvPT_PKS6_llS6_dd.has_recursion, 0
	.set _ZN2at6native12_GLOBAL__N_122pdist_kernel_cuda_implIdNS1_5distsIdE1pEEEvPT_PKS6_llS6_dd.has_indirect_call, 0
	.section	.AMDGPU.csdata,"",@progbits
; Kernel info:
; codeLenInByte = 4840
; TotalNumSgprs: 62
; NumVgprs: 72
; NumAgprs: 0
; TotalNumVgprs: 72
; ScratchSize: 0
; MemoryBound: 0
; FloatMode: 240
; IeeeMode: 1
; LDSByteSize: 2048 bytes/workgroup (compile time only)
; SGPRBlocks: 7
; VGPRBlocks: 8
; NumSGPRsForWavesPerEU: 62
; NumVGPRsForWavesPerEU: 72
; AccumOffset: 72
; Occupancy: 7
; WaveLimiterHint : 0
; COMPUTE_PGM_RSRC2:SCRATCH_EN: 0
; COMPUTE_PGM_RSRC2:USER_SGPR: 2
; COMPUTE_PGM_RSRC2:TRAP_HANDLER: 0
; COMPUTE_PGM_RSRC2:TGID_X_EN: 1
; COMPUTE_PGM_RSRC2:TGID_Y_EN: 0
; COMPUTE_PGM_RSRC2:TGID_Z_EN: 0
; COMPUTE_PGM_RSRC2:TIDIG_COMP_CNT: 0
; COMPUTE_PGM_RSRC3_GFX90A:ACCUM_OFFSET: 17
; COMPUTE_PGM_RSRC3_GFX90A:TG_SPLIT: 0
	.section	.text._ZN2at6native12_GLOBAL__N_122pdist_kernel_cuda_implIdNS1_5distsIdE4zeroEEEvPT_PKS6_llS6_dd,"axG",@progbits,_ZN2at6native12_GLOBAL__N_122pdist_kernel_cuda_implIdNS1_5distsIdE4zeroEEEvPT_PKS6_llS6_dd,comdat
	.globl	_ZN2at6native12_GLOBAL__N_122pdist_kernel_cuda_implIdNS1_5distsIdE4zeroEEEvPT_PKS6_llS6_dd ; -- Begin function _ZN2at6native12_GLOBAL__N_122pdist_kernel_cuda_implIdNS1_5distsIdE4zeroEEEvPT_PKS6_llS6_dd
	.p2align	8
	.type	_ZN2at6native12_GLOBAL__N_122pdist_kernel_cuda_implIdNS1_5distsIdE4zeroEEEvPT_PKS6_llS6_dd,@function
_ZN2at6native12_GLOBAL__N_122pdist_kernel_cuda_implIdNS1_5distsIdE4zeroEEEvPT_PKS6_llS6_dd: ; @_ZN2at6native12_GLOBAL__N_122pdist_kernel_cuda_implIdNS1_5distsIdE4zeroEEEvPT_PKS6_llS6_dd
; %bb.0:
	s_load_dwordx8 s[4:11], s[0:1], 0x0
	s_load_dword s18, s[0:1], 0x44
	v_mov_b32_e32 v1, 0
	s_mov_b32 s3, 0
	v_mov_b64_e32 v[10:11], 0
	s_waitcnt lgkmcnt(0)
	v_cmp_gt_i64_e32 vcc, s[10:11], v[0:1]
	s_and_saveexec_b64 s[12:13], vcc
	s_cbranch_execz .LBB11_8
; %bb.1:
	s_load_dwordx4 s[20:23], s[0:1], 0x28
	s_lshl_b64 s[0:1], s[2:3], 1
	v_cvt_f64_u32_e32 v[2:3], s1
	v_ldexp_f64 v[2:3], v[2:3], 32
	v_cvt_f64_u32_e32 v[4:5], s0
	v_add_f64 v[2:3], v[2:3], v[4:5]
	s_mov_b32 s0, 0
	s_waitcnt lgkmcnt(0)
	v_add_f64 v[2:3], s[22:23], -v[2:3]
	s_brev_b32 s1, 8
	v_cmp_gt_f64_e32 vcc, s[0:1], v[2:3]
	s_and_b64 s[0:1], vcc, exec
	s_cselect_b32 s0, 0x100, 0
	v_ldexp_f64 v[2:3], v[2:3], s0
	v_rsq_f64_e32 v[4:5], v[2:3]
	s_cselect_b32 s0, 0xffffff80, 0
	v_mov_b64_e32 v[12:13], 0
	v_mul_f64 v[6:7], v[2:3], v[4:5]
	v_mul_f64 v[4:5], v[4:5], 0.5
	v_fma_f64 v[8:9], -v[4:5], v[6:7], 0.5
	v_fmac_f64_e32 v[6:7], v[6:7], v[8:9]
	v_fma_f64 v[10:11], -v[6:7], v[6:7], v[2:3]
	v_fmac_f64_e32 v[4:5], v[4:5], v[8:9]
	v_fmac_f64_e32 v[6:7], v[10:11], v[4:5]
	v_fma_f64 v[8:9], -v[6:7], v[6:7], v[2:3]
	v_fmac_f64_e32 v[6:7], v[8:9], v[4:5]
	v_ldexp_f64 v[4:5], v[6:7], s0
	v_mov_b32_e32 v6, 0x260
	v_cmp_class_f64_e32 vcc, v[2:3], v6
	s_movk_i32 s0, 0xffe0
	v_lshlrev_b32_e32 v8, 3, v0
	v_cndmask_b32_e32 v3, v5, v3, vcc
	v_cndmask_b32_e32 v2, v4, v2, vcc
	v_add_f64 v[2:3], s[20:21], -v[2:3]
	v_trunc_f64_e32 v[2:3], v[2:3]
	v_ldexp_f64 v[4:5], v[2:3], s0
	v_floor_f64_e32 v[4:5], v[4:5]
	v_fmac_f64_e32 v[2:3], 0xc1f00000, v[4:5]
	v_cvt_u32_f64_e32 v2, v[2:3]
	v_cvt_i32_f64_e32 v3, v[4:5]
	v_mul_hi_u32 v5, s10, v2
	v_readfirstlane_b32 s15, v3
	v_mul_lo_u32 v3, s10, v3
	v_mul_lo_u32 v4, s11, v2
	v_add_u32_e32 v3, v5, v3
	v_readfirstlane_b32 s14, v2
	v_add_u32_e32 v3, v3, v4
	v_mul_lo_u32 v2, s10, v2
	v_lshlrev_b64 v[2:3], 3, v[2:3]
	v_lshl_add_u64 v[6:7], s[6:7], 0, v[2:3]
	s_lshl_b64 s[0:1], s[10:11], 3
	v_lshl_add_u64 v[4:5], v[6:7], 0, s[0:1]
	s_add_u32 s0, s14, 1
	s_addc_u32 s1, s15, 0
	s_add_u32 s16, s0, s2
	s_mul_hi_u32 s19, s8, s14
	s_mul_i32 s20, s8, s15
	s_addc_u32 s17, s1, 0
	s_mul_i32 s9, s9, s14
	s_add_i32 s19, s19, s20
	s_add_i32 s19, s19, s9
	s_mul_i32 s8, s8, s14
	s_sub_u32 s8, s16, s8
	s_mul_hi_u32 s16, s0, s14
	s_mul_i32 s15, s0, s15
	s_subb_u32 s9, s17, s19
	s_mul_i32 s1, s1, s14
	s_add_i32 s15, s16, s15
	s_add_i32 s15, s15, s1
	s_mul_i32 s0, s0, s14
	s_lshr_b32 s1, s15, 31
	s_add_u32 s0, s0, s1
	s_addc_u32 s1, s15, 0
	s_ashr_i64 s[0:1], s[0:1], 1
	s_add_u32 s0, s8, s0
	s_addc_u32 s1, s9, s1
	s_mul_i32 s1, s10, s1
	s_mul_hi_u32 s8, s10, s0
	s_add_i32 s1, s8, s1
	s_mul_i32 s8, s11, s0
	v_mov_b32_e32 v9, v1
	s_and_b32 s14, s18, 0xffff
	s_add_i32 s1, s1, s8
	s_mul_i32 s0, s10, s0
	v_lshl_add_u64 v[6:7], v[6:7], 0, v[8:9]
	s_lshl_b64 s[0:1], s[0:1], 3
	v_lshl_add_u64 v[8:9], s[6:7], 0, v[8:9]
	s_lshl_b32 s6, s14, 3
	s_mov_b32 s7, s3
	s_mov_b64 s[8:9], 0
	s_lshl_b32 s10, s14, 3
	s_mov_b32 s11, s3
	s_branch .LBB11_4
.LBB11_2:                               ;   in Loop: Header=BB11_4 Depth=1
	s_or_b64 exec, exec, s[16:17]
	v_mov_b64_e32 v[10:11], v[12:13]
.LBB11_3:                               ;   in Loop: Header=BB11_4 Depth=1
	s_or_b64 exec, exec, s[14:15]
	v_lshl_add_u64 v[6:7], v[6:7], 0, s[10:11]
	v_cmp_ge_u64_e32 vcc, v[6:7], v[4:5]
	v_lshl_add_u64 v[8:9], v[8:9], 0, s[6:7]
	s_or_b64 s[8:9], vcc, s[8:9]
	v_mov_b64_e32 v[12:13], v[10:11]
	s_andn2_b64 exec, exec, s[8:9]
	s_cbranch_execz .LBB11_7
.LBB11_4:                               ; =>This Inner Loop Header: Depth=1
	v_lshl_add_u64 v[14:15], v[8:9], 0, v[2:3]
	v_lshl_add_u64 v[10:11], v[8:9], 0, s[0:1]
	global_load_dwordx2 v[16:17], v[14:15], off
	global_load_dwordx2 v[18:19], v[10:11], off
	s_waitcnt vmcnt(0)
	v_add_f64 v[14:15], v[16:17], -v[18:19]
	v_and_b32_e32 v11, 0x7fffffff, v15
	v_mov_b32_e32 v10, v14
	v_cmp_o_f64_e32 vcc, v[14:15], v[14:15]
	s_and_saveexec_b64 s[14:15], vcc
	s_cbranch_execz .LBB11_3
; %bb.5:                                ;   in Loop: Header=BB11_4 Depth=1
	v_cmp_neq_f64_e32 vcc, 0, v[14:15]
	s_and_saveexec_b64 s[16:17], vcc
	s_cbranch_execz .LBB11_2
; %bb.6:                                ;   in Loop: Header=BB11_4 Depth=1
	v_add_f64 v[12:13], v[12:13], 1.0
	s_branch .LBB11_2
.LBB11_7:
	s_or_b64 exec, exec, s[8:9]
.LBB11_8:
	s_or_b64 exec, exec, s[12:13]
	v_mbcnt_lo_u32_b32 v1, -1, 0
	v_mbcnt_hi_u32_b32 v12, -1, v1
	v_mov_b32_e32 v1, 0x80
	v_lshl_or_b32 v1, v12, 2, v1
	ds_bpermute_b32 v2, v1, v10
	ds_bpermute_b32 v3, v1, v11
	v_and_b32_e32 v13, 63, v12
	v_cmp_gt_u32_e32 vcc, 48, v13
	s_waitcnt lgkmcnt(0)
	s_barrier
	v_cndmask_b32_e64 v4, 0, 16, vcc
	v_add_f64 v[2:3], v[10:11], v[2:3]
	v_add_lshl_u32 v6, v4, v12, 2
	ds_bpermute_b32 v4, v6, v2
	ds_bpermute_b32 v5, v6, v3
	v_cmp_gt_u32_e32 vcc, 56, v13
	v_and_b32_e32 v11, 63, v0
	s_waitcnt lgkmcnt(0)
	v_add_f64 v[2:3], v[2:3], v[4:5]
	v_cndmask_b32_e64 v4, 0, 8, vcc
	v_add_lshl_u32 v7, v4, v12, 2
	ds_bpermute_b32 v4, v7, v2
	ds_bpermute_b32 v5, v7, v3
	v_cmp_gt_u32_e32 vcc, 60, v13
	s_waitcnt lgkmcnt(0)
	v_add_f64 v[2:3], v[2:3], v[4:5]
	v_cndmask_b32_e64 v4, 0, 4, vcc
	v_add_lshl_u32 v8, v4, v12, 2
	ds_bpermute_b32 v4, v8, v2
	ds_bpermute_b32 v5, v8, v3
	v_cmp_gt_u32_e32 vcc, 62, v13
	s_waitcnt lgkmcnt(0)
	v_add_f64 v[2:3], v[2:3], v[4:5]
	v_cndmask_b32_e64 v4, 0, 2, vcc
	v_add_lshl_u32 v9, v4, v12, 2
	ds_bpermute_b32 v4, v9, v2
	ds_bpermute_b32 v5, v9, v3
	v_cmp_ne_u32_e32 vcc, 63, v13
	s_waitcnt lgkmcnt(0)
	v_add_f64 v[2:3], v[2:3], v[4:5]
	v_addc_co_u32_e32 v4, vcc, 0, v12, vcc
	v_lshlrev_b32_e32 v10, 2, v4
	ds_bpermute_b32 v4, v10, v2
	ds_bpermute_b32 v5, v10, v3
	v_cmp_eq_u32_e32 vcc, 0, v11
	s_and_saveexec_b64 s[0:1], vcc
	s_cbranch_execz .LBB11_10
; %bb.9:
	v_lshrrev_b32_e32 v12, 3, v0
	s_waitcnt lgkmcnt(0)
	v_add_f64 v[2:3], v[2:3], v[4:5]
	ds_write_b64 v12, v[2:3]
.LBB11_10:
	s_or_b64 exec, exec, s[0:1]
	s_and_b32 s0, 0xffff, s18
	s_lshr_b32 s0, s0, 6
	v_cmp_gt_u32_e32 vcc, s0, v0
	v_mov_b64_e32 v[2:3], 0
	s_waitcnt lgkmcnt(0)
	s_barrier
	s_and_saveexec_b64 s[0:1], vcc
	s_cbranch_execnz .LBB11_14
; %bb.11:
	s_or_b64 exec, exec, s[0:1]
	v_cmp_gt_u32_e32 vcc, 64, v0
	s_and_saveexec_b64 s[0:1], vcc
	s_cbranch_execnz .LBB11_15
.LBB11_12:
	s_or_b64 exec, exec, s[0:1]
	v_cmp_eq_u32_e32 vcc, 0, v0
	s_and_saveexec_b64 s[0:1], vcc
	s_cbranch_execnz .LBB11_16
.LBB11_13:
	s_endpgm
.LBB11_14:
	v_lshlrev_b32_e32 v2, 3, v11
	ds_read_b64 v[2:3], v2
	s_or_b64 exec, exec, s[0:1]
	v_cmp_gt_u32_e32 vcc, 64, v0
	s_and_saveexec_b64 s[0:1], vcc
	s_cbranch_execz .LBB11_12
.LBB11_15:
	s_waitcnt lgkmcnt(0)
	ds_bpermute_b32 v4, v1, v2
	ds_bpermute_b32 v5, v1, v3
	s_waitcnt lgkmcnt(0)
	v_add_f64 v[2:3], v[2:3], v[4:5]
	ds_bpermute_b32 v4, v6, v2
	ds_bpermute_b32 v5, v6, v3
	s_waitcnt lgkmcnt(0)
	v_add_f64 v[2:3], v[2:3], v[4:5]
	;; [unrolled: 4-line block ×6, first 2 shown]
	s_or_b64 exec, exec, s[0:1]
	v_cmp_eq_u32_e32 vcc, 0, v0
	s_and_saveexec_b64 s[0:1], vcc
	s_cbranch_execz .LBB11_13
.LBB11_16:
	s_lshl_b64 s[0:1], s[2:3], 3
	s_add_u32 s0, s4, s0
	s_addc_u32 s1, s5, s1
	v_mov_b32_e32 v0, 0
	s_waitcnt lgkmcnt(0)
	global_store_dwordx2 v0, v[2:3], s[0:1]
	s_endpgm
	.section	.rodata,"a",@progbits
	.p2align	6, 0x0
	.amdhsa_kernel _ZN2at6native12_GLOBAL__N_122pdist_kernel_cuda_implIdNS1_5distsIdE4zeroEEEvPT_PKS6_llS6_dd
		.amdhsa_group_segment_fixed_size 2048
		.amdhsa_private_segment_fixed_size 0
		.amdhsa_kernarg_size 312
		.amdhsa_user_sgpr_count 2
		.amdhsa_user_sgpr_dispatch_ptr 0
		.amdhsa_user_sgpr_queue_ptr 0
		.amdhsa_user_sgpr_kernarg_segment_ptr 1
		.amdhsa_user_sgpr_dispatch_id 0
		.amdhsa_user_sgpr_kernarg_preload_length 0
		.amdhsa_user_sgpr_kernarg_preload_offset 0
		.amdhsa_user_sgpr_private_segment_size 0
		.amdhsa_uses_dynamic_stack 0
		.amdhsa_enable_private_segment 0
		.amdhsa_system_sgpr_workgroup_id_x 1
		.amdhsa_system_sgpr_workgroup_id_y 0
		.amdhsa_system_sgpr_workgroup_id_z 0
		.amdhsa_system_sgpr_workgroup_info 0
		.amdhsa_system_vgpr_workitem_id 0
		.amdhsa_next_free_vgpr 20
		.amdhsa_next_free_sgpr 24
		.amdhsa_accum_offset 20
		.amdhsa_reserve_vcc 1
		.amdhsa_float_round_mode_32 0
		.amdhsa_float_round_mode_16_64 0
		.amdhsa_float_denorm_mode_32 3
		.amdhsa_float_denorm_mode_16_64 3
		.amdhsa_dx10_clamp 1
		.amdhsa_ieee_mode 1
		.amdhsa_fp16_overflow 0
		.amdhsa_tg_split 0
		.amdhsa_exception_fp_ieee_invalid_op 0
		.amdhsa_exception_fp_denorm_src 0
		.amdhsa_exception_fp_ieee_div_zero 0
		.amdhsa_exception_fp_ieee_overflow 0
		.amdhsa_exception_fp_ieee_underflow 0
		.amdhsa_exception_fp_ieee_inexact 0
		.amdhsa_exception_int_div_zero 0
	.end_amdhsa_kernel
	.section	.text._ZN2at6native12_GLOBAL__N_122pdist_kernel_cuda_implIdNS1_5distsIdE4zeroEEEvPT_PKS6_llS6_dd,"axG",@progbits,_ZN2at6native12_GLOBAL__N_122pdist_kernel_cuda_implIdNS1_5distsIdE4zeroEEEvPT_PKS6_llS6_dd,comdat
.Lfunc_end11:
	.size	_ZN2at6native12_GLOBAL__N_122pdist_kernel_cuda_implIdNS1_5distsIdE4zeroEEEvPT_PKS6_llS6_dd, .Lfunc_end11-_ZN2at6native12_GLOBAL__N_122pdist_kernel_cuda_implIdNS1_5distsIdE4zeroEEEvPT_PKS6_llS6_dd
                                        ; -- End function
	.set _ZN2at6native12_GLOBAL__N_122pdist_kernel_cuda_implIdNS1_5distsIdE4zeroEEEvPT_PKS6_llS6_dd.num_vgpr, 20
	.set _ZN2at6native12_GLOBAL__N_122pdist_kernel_cuda_implIdNS1_5distsIdE4zeroEEEvPT_PKS6_llS6_dd.num_agpr, 0
	.set _ZN2at6native12_GLOBAL__N_122pdist_kernel_cuda_implIdNS1_5distsIdE4zeroEEEvPT_PKS6_llS6_dd.numbered_sgpr, 24
	.set _ZN2at6native12_GLOBAL__N_122pdist_kernel_cuda_implIdNS1_5distsIdE4zeroEEEvPT_PKS6_llS6_dd.num_named_barrier, 0
	.set _ZN2at6native12_GLOBAL__N_122pdist_kernel_cuda_implIdNS1_5distsIdE4zeroEEEvPT_PKS6_llS6_dd.private_seg_size, 0
	.set _ZN2at6native12_GLOBAL__N_122pdist_kernel_cuda_implIdNS1_5distsIdE4zeroEEEvPT_PKS6_llS6_dd.uses_vcc, 1
	.set _ZN2at6native12_GLOBAL__N_122pdist_kernel_cuda_implIdNS1_5distsIdE4zeroEEEvPT_PKS6_llS6_dd.uses_flat_scratch, 0
	.set _ZN2at6native12_GLOBAL__N_122pdist_kernel_cuda_implIdNS1_5distsIdE4zeroEEEvPT_PKS6_llS6_dd.has_dyn_sized_stack, 0
	.set _ZN2at6native12_GLOBAL__N_122pdist_kernel_cuda_implIdNS1_5distsIdE4zeroEEEvPT_PKS6_llS6_dd.has_recursion, 0
	.set _ZN2at6native12_GLOBAL__N_122pdist_kernel_cuda_implIdNS1_5distsIdE4zeroEEEvPT_PKS6_llS6_dd.has_indirect_call, 0
	.section	.AMDGPU.csdata,"",@progbits
; Kernel info:
; codeLenInByte = 1324
; TotalNumSgprs: 30
; NumVgprs: 20
; NumAgprs: 0
; TotalNumVgprs: 20
; ScratchSize: 0
; MemoryBound: 0
; FloatMode: 240
; IeeeMode: 1
; LDSByteSize: 2048 bytes/workgroup (compile time only)
; SGPRBlocks: 3
; VGPRBlocks: 2
; NumSGPRsForWavesPerEU: 30
; NumVGPRsForWavesPerEU: 20
; AccumOffset: 20
; Occupancy: 8
; WaveLimiterHint : 0
; COMPUTE_PGM_RSRC2:SCRATCH_EN: 0
; COMPUTE_PGM_RSRC2:USER_SGPR: 2
; COMPUTE_PGM_RSRC2:TRAP_HANDLER: 0
; COMPUTE_PGM_RSRC2:TGID_X_EN: 1
; COMPUTE_PGM_RSRC2:TGID_Y_EN: 0
; COMPUTE_PGM_RSRC2:TGID_Z_EN: 0
; COMPUTE_PGM_RSRC2:TIDIG_COMP_CNT: 0
; COMPUTE_PGM_RSRC3_GFX90A:ACCUM_OFFSET: 4
; COMPUTE_PGM_RSRC3_GFX90A:TG_SPLIT: 0
	.section	.text._ZN2at6native12_GLOBAL__N_122pdist_kernel_cuda_implIdNS1_5distsIdE3oneEEEvPT_PKS6_llS6_dd,"axG",@progbits,_ZN2at6native12_GLOBAL__N_122pdist_kernel_cuda_implIdNS1_5distsIdE3oneEEEvPT_PKS6_llS6_dd,comdat
	.globl	_ZN2at6native12_GLOBAL__N_122pdist_kernel_cuda_implIdNS1_5distsIdE3oneEEEvPT_PKS6_llS6_dd ; -- Begin function _ZN2at6native12_GLOBAL__N_122pdist_kernel_cuda_implIdNS1_5distsIdE3oneEEEvPT_PKS6_llS6_dd
	.p2align	8
	.type	_ZN2at6native12_GLOBAL__N_122pdist_kernel_cuda_implIdNS1_5distsIdE3oneEEEvPT_PKS6_llS6_dd,@function
_ZN2at6native12_GLOBAL__N_122pdist_kernel_cuda_implIdNS1_5distsIdE3oneEEEvPT_PKS6_llS6_dd: ; @_ZN2at6native12_GLOBAL__N_122pdist_kernel_cuda_implIdNS1_5distsIdE3oneEEEvPT_PKS6_llS6_dd
; %bb.0:
	s_load_dwordx8 s[4:11], s[0:1], 0x0
	s_load_dword s14, s[0:1], 0x44
	v_mov_b32_e32 v1, 0
	s_mov_b32 s3, 0
	v_mov_b64_e32 v[8:9], 0
	s_waitcnt lgkmcnt(0)
	v_cmp_gt_i64_e32 vcc, s[10:11], v[0:1]
	s_and_saveexec_b64 s[12:13], vcc
	s_cbranch_execz .LBB12_4
; %bb.1:
	s_load_dwordx4 s[16:19], s[0:1], 0x28
	s_lshl_b64 s[0:1], s[2:3], 1
	v_cvt_f64_u32_e32 v[2:3], s1
	v_ldexp_f64 v[2:3], v[2:3], 32
	v_cvt_f64_u32_e32 v[4:5], s0
	v_add_f64 v[2:3], v[2:3], v[4:5]
	s_mov_b32 s0, 0
	s_waitcnt lgkmcnt(0)
	v_add_f64 v[2:3], s[18:19], -v[2:3]
	s_brev_b32 s1, 8
	v_cmp_gt_f64_e32 vcc, s[0:1], v[2:3]
	s_and_b64 s[0:1], vcc, exec
	s_cselect_b32 s0, 0x100, 0
	v_ldexp_f64 v[2:3], v[2:3], s0
	v_rsq_f64_e32 v[4:5], v[2:3]
	s_cselect_b32 s0, 0xffffff80, 0
	v_mul_f64 v[6:7], v[2:3], v[4:5]
	v_mul_f64 v[4:5], v[4:5], 0.5
	v_fma_f64 v[8:9], -v[4:5], v[6:7], 0.5
	v_fmac_f64_e32 v[6:7], v[6:7], v[8:9]
	v_fma_f64 v[10:11], -v[6:7], v[6:7], v[2:3]
	v_fmac_f64_e32 v[4:5], v[4:5], v[8:9]
	v_fmac_f64_e32 v[6:7], v[10:11], v[4:5]
	v_fma_f64 v[8:9], -v[6:7], v[6:7], v[2:3]
	v_fmac_f64_e32 v[6:7], v[8:9], v[4:5]
	v_ldexp_f64 v[4:5], v[6:7], s0
	v_mov_b32_e32 v6, 0x260
	v_cmp_class_f64_e32 vcc, v[2:3], v6
	s_movk_i32 s0, 0xffe0
	v_lshlrev_b32_e32 v8, 3, v0
	v_cndmask_b32_e32 v3, v5, v3, vcc
	v_cndmask_b32_e32 v2, v4, v2, vcc
	v_add_f64 v[2:3], s[16:17], -v[2:3]
	v_trunc_f64_e32 v[2:3], v[2:3]
	v_ldexp_f64 v[4:5], v[2:3], s0
	v_floor_f64_e32 v[4:5], v[4:5]
	v_fmac_f64_e32 v[2:3], 0xc1f00000, v[4:5]
	v_cvt_u32_f64_e32 v2, v[2:3]
	v_cvt_i32_f64_e32 v3, v[4:5]
	v_mul_hi_u32 v5, s10, v2
	v_readfirstlane_b32 s16, v3
	v_mul_lo_u32 v3, s10, v3
	v_mul_lo_u32 v4, s11, v2
	v_add_u32_e32 v3, v5, v3
	v_readfirstlane_b32 s15, v2
	v_add_u32_e32 v3, v3, v4
	v_mul_lo_u32 v2, s10, v2
	v_lshlrev_b64 v[2:3], 3, v[2:3]
	v_lshl_add_u64 v[6:7], s[6:7], 0, v[2:3]
	s_lshl_b64 s[0:1], s[10:11], 3
	v_lshl_add_u64 v[4:5], v[6:7], 0, s[0:1]
	s_add_u32 s0, s15, 1
	s_addc_u32 s1, s16, 0
	s_add_u32 s17, s0, s2
	s_mul_hi_u32 s19, s8, s15
	s_mul_i32 s20, s8, s16
	s_addc_u32 s18, s1, 0
	s_mul_i32 s9, s9, s15
	s_add_i32 s19, s19, s20
	s_add_i32 s19, s19, s9
	s_mul_i32 s8, s8, s15
	s_sub_u32 s8, s17, s8
	s_mul_hi_u32 s17, s0, s15
	s_mul_i32 s16, s0, s16
	s_subb_u32 s9, s18, s19
	s_mul_i32 s1, s1, s15
	s_add_i32 s16, s17, s16
	s_add_i32 s16, s16, s1
	s_mul_i32 s0, s0, s15
	s_lshr_b32 s1, s16, 31
	s_add_u32 s0, s0, s1
	s_addc_u32 s1, s16, 0
	s_ashr_i64 s[0:1], s[0:1], 1
	s_add_u32 s0, s8, s0
	s_addc_u32 s1, s9, s1
	s_mul_i32 s1, s10, s1
	s_mul_hi_u32 s8, s10, s0
	s_add_i32 s1, s8, s1
	s_mul_i32 s8, s11, s0
	v_mov_b32_e32 v9, v1
	s_and_b32 s15, s14, 0xffff
	s_add_i32 s1, s1, s8
	s_mul_i32 s0, s10, s0
	v_lshl_add_u64 v[6:7], v[6:7], 0, v[8:9]
	s_lshl_b64 s[0:1], s[0:1], 3
	v_lshl_add_u64 v[10:11], s[6:7], 0, v[8:9]
	s_lshl_b32 s6, s15, 3
	s_mov_b32 s7, s3
	v_mov_b64_e32 v[8:9], 0
	s_mov_b64 s[8:9], 0
	s_lshl_b32 s10, s15, 3
	s_mov_b32 s11, s3
.LBB12_2:                               ; =>This Inner Loop Header: Depth=1
	v_lshl_add_u64 v[14:15], v[10:11], 0, v[2:3]
	v_lshl_add_u64 v[12:13], v[10:11], 0, s[0:1]
	global_load_dwordx2 v[16:17], v[14:15], off
	global_load_dwordx2 v[18:19], v[12:13], off
	v_lshl_add_u64 v[6:7], v[6:7], 0, s[10:11]
	v_cmp_ge_u64_e32 vcc, v[6:7], v[4:5]
	v_lshl_add_u64 v[10:11], v[10:11], 0, s[6:7]
	s_or_b64 s[8:9], vcc, s[8:9]
	s_waitcnt vmcnt(0)
	v_add_f64 v[12:13], v[16:17], -v[18:19]
	v_add_f64 v[8:9], v[8:9], |v[12:13]|
	s_andn2_b64 exec, exec, s[8:9]
	s_cbranch_execnz .LBB12_2
; %bb.3:
	s_or_b64 exec, exec, s[8:9]
.LBB12_4:
	s_or_b64 exec, exec, s[12:13]
	v_mbcnt_lo_u32_b32 v1, -1, 0
	v_mbcnt_hi_u32_b32 v10, -1, v1
	v_mov_b32_e32 v1, 0x80
	v_lshl_or_b32 v1, v10, 2, v1
	ds_bpermute_b32 v2, v1, v8
	ds_bpermute_b32 v3, v1, v9
	v_and_b32_e32 v12, 63, v10
	v_cmp_gt_u32_e32 vcc, 48, v12
	v_and_b32_e32 v11, 63, v0
	s_waitcnt lgkmcnt(0)
	v_cndmask_b32_e64 v4, 0, 16, vcc
	v_add_f64 v[2:3], v[8:9], v[2:3]
	v_add_lshl_u32 v6, v4, v10, 2
	ds_bpermute_b32 v4, v6, v2
	ds_bpermute_b32 v5, v6, v3
	v_cmp_gt_u32_e32 vcc, 56, v12
	s_barrier
	s_waitcnt lgkmcnt(0)
	v_add_f64 v[2:3], v[2:3], v[4:5]
	v_cndmask_b32_e64 v4, 0, 8, vcc
	v_add_lshl_u32 v7, v4, v10, 2
	ds_bpermute_b32 v4, v7, v2
	ds_bpermute_b32 v5, v7, v3
	v_cmp_gt_u32_e32 vcc, 60, v12
	s_waitcnt lgkmcnt(0)
	v_add_f64 v[2:3], v[2:3], v[4:5]
	v_cndmask_b32_e64 v4, 0, 4, vcc
	v_add_lshl_u32 v8, v4, v10, 2
	ds_bpermute_b32 v4, v8, v2
	ds_bpermute_b32 v5, v8, v3
	v_cmp_gt_u32_e32 vcc, 62, v12
	s_waitcnt lgkmcnt(0)
	v_add_f64 v[2:3], v[2:3], v[4:5]
	v_cndmask_b32_e64 v4, 0, 2, vcc
	v_add_lshl_u32 v9, v4, v10, 2
	ds_bpermute_b32 v4, v9, v2
	ds_bpermute_b32 v5, v9, v3
	v_cmp_ne_u32_e32 vcc, 63, v12
	s_waitcnt lgkmcnt(0)
	v_add_f64 v[2:3], v[2:3], v[4:5]
	v_addc_co_u32_e32 v4, vcc, 0, v10, vcc
	v_lshlrev_b32_e32 v10, 2, v4
	ds_bpermute_b32 v4, v10, v2
	ds_bpermute_b32 v5, v10, v3
	v_cmp_eq_u32_e32 vcc, 0, v11
	s_and_saveexec_b64 s[0:1], vcc
	s_cbranch_execz .LBB12_6
; %bb.5:
	v_lshrrev_b32_e32 v12, 3, v0
	s_waitcnt lgkmcnt(0)
	v_add_f64 v[2:3], v[2:3], v[4:5]
	ds_write_b64 v12, v[2:3]
.LBB12_6:
	s_or_b64 exec, exec, s[0:1]
	s_and_b32 s0, 0xffff, s14
	s_lshr_b32 s0, s0, 6
	v_cmp_gt_u32_e32 vcc, s0, v0
	v_mov_b64_e32 v[2:3], 0
	s_waitcnt lgkmcnt(0)
	s_barrier
	s_and_saveexec_b64 s[0:1], vcc
	s_cbranch_execnz .LBB12_10
; %bb.7:
	s_or_b64 exec, exec, s[0:1]
	v_cmp_gt_u32_e32 vcc, 64, v0
	s_and_saveexec_b64 s[0:1], vcc
	s_cbranch_execnz .LBB12_11
.LBB12_8:
	s_or_b64 exec, exec, s[0:1]
	v_cmp_eq_u32_e32 vcc, 0, v0
	s_and_saveexec_b64 s[0:1], vcc
	s_cbranch_execnz .LBB12_12
.LBB12_9:
	s_endpgm
.LBB12_10:
	v_lshlrev_b32_e32 v2, 3, v11
	ds_read_b64 v[2:3], v2
	s_or_b64 exec, exec, s[0:1]
	v_cmp_gt_u32_e32 vcc, 64, v0
	s_and_saveexec_b64 s[0:1], vcc
	s_cbranch_execz .LBB12_8
.LBB12_11:
	s_waitcnt lgkmcnt(0)
	ds_bpermute_b32 v4, v1, v2
	ds_bpermute_b32 v5, v1, v3
	s_waitcnt lgkmcnt(0)
	v_add_f64 v[2:3], v[2:3], v[4:5]
	ds_bpermute_b32 v4, v6, v2
	ds_bpermute_b32 v5, v6, v3
	s_waitcnt lgkmcnt(0)
	v_add_f64 v[2:3], v[2:3], v[4:5]
	;; [unrolled: 4-line block ×6, first 2 shown]
	s_or_b64 exec, exec, s[0:1]
	v_cmp_eq_u32_e32 vcc, 0, v0
	s_and_saveexec_b64 s[0:1], vcc
	s_cbranch_execz .LBB12_9
.LBB12_12:
	s_lshl_b64 s[0:1], s[2:3], 3
	s_add_u32 s0, s4, s0
	s_addc_u32 s1, s5, s1
	v_mov_b32_e32 v0, 0
	s_waitcnt lgkmcnt(0)
	global_store_dwordx2 v0, v[2:3], s[0:1]
	s_endpgm
	.section	.rodata,"a",@progbits
	.p2align	6, 0x0
	.amdhsa_kernel _ZN2at6native12_GLOBAL__N_122pdist_kernel_cuda_implIdNS1_5distsIdE3oneEEEvPT_PKS6_llS6_dd
		.amdhsa_group_segment_fixed_size 2048
		.amdhsa_private_segment_fixed_size 0
		.amdhsa_kernarg_size 312
		.amdhsa_user_sgpr_count 2
		.amdhsa_user_sgpr_dispatch_ptr 0
		.amdhsa_user_sgpr_queue_ptr 0
		.amdhsa_user_sgpr_kernarg_segment_ptr 1
		.amdhsa_user_sgpr_dispatch_id 0
		.amdhsa_user_sgpr_kernarg_preload_length 0
		.amdhsa_user_sgpr_kernarg_preload_offset 0
		.amdhsa_user_sgpr_private_segment_size 0
		.amdhsa_uses_dynamic_stack 0
		.amdhsa_enable_private_segment 0
		.amdhsa_system_sgpr_workgroup_id_x 1
		.amdhsa_system_sgpr_workgroup_id_y 0
		.amdhsa_system_sgpr_workgroup_id_z 0
		.amdhsa_system_sgpr_workgroup_info 0
		.amdhsa_system_vgpr_workitem_id 0
		.amdhsa_next_free_vgpr 20
		.amdhsa_next_free_sgpr 21
		.amdhsa_accum_offset 20
		.amdhsa_reserve_vcc 1
		.amdhsa_float_round_mode_32 0
		.amdhsa_float_round_mode_16_64 0
		.amdhsa_float_denorm_mode_32 3
		.amdhsa_float_denorm_mode_16_64 3
		.amdhsa_dx10_clamp 1
		.amdhsa_ieee_mode 1
		.amdhsa_fp16_overflow 0
		.amdhsa_tg_split 0
		.amdhsa_exception_fp_ieee_invalid_op 0
		.amdhsa_exception_fp_denorm_src 0
		.amdhsa_exception_fp_ieee_div_zero 0
		.amdhsa_exception_fp_ieee_overflow 0
		.amdhsa_exception_fp_ieee_underflow 0
		.amdhsa_exception_fp_ieee_inexact 0
		.amdhsa_exception_int_div_zero 0
	.end_amdhsa_kernel
	.section	.text._ZN2at6native12_GLOBAL__N_122pdist_kernel_cuda_implIdNS1_5distsIdE3oneEEEvPT_PKS6_llS6_dd,"axG",@progbits,_ZN2at6native12_GLOBAL__N_122pdist_kernel_cuda_implIdNS1_5distsIdE3oneEEEvPT_PKS6_llS6_dd,comdat
.Lfunc_end12:
	.size	_ZN2at6native12_GLOBAL__N_122pdist_kernel_cuda_implIdNS1_5distsIdE3oneEEEvPT_PKS6_llS6_dd, .Lfunc_end12-_ZN2at6native12_GLOBAL__N_122pdist_kernel_cuda_implIdNS1_5distsIdE3oneEEEvPT_PKS6_llS6_dd
                                        ; -- End function
	.set _ZN2at6native12_GLOBAL__N_122pdist_kernel_cuda_implIdNS1_5distsIdE3oneEEEvPT_PKS6_llS6_dd.num_vgpr, 20
	.set _ZN2at6native12_GLOBAL__N_122pdist_kernel_cuda_implIdNS1_5distsIdE3oneEEEvPT_PKS6_llS6_dd.num_agpr, 0
	.set _ZN2at6native12_GLOBAL__N_122pdist_kernel_cuda_implIdNS1_5distsIdE3oneEEEvPT_PKS6_llS6_dd.numbered_sgpr, 21
	.set _ZN2at6native12_GLOBAL__N_122pdist_kernel_cuda_implIdNS1_5distsIdE3oneEEEvPT_PKS6_llS6_dd.num_named_barrier, 0
	.set _ZN2at6native12_GLOBAL__N_122pdist_kernel_cuda_implIdNS1_5distsIdE3oneEEEvPT_PKS6_llS6_dd.private_seg_size, 0
	.set _ZN2at6native12_GLOBAL__N_122pdist_kernel_cuda_implIdNS1_5distsIdE3oneEEEvPT_PKS6_llS6_dd.uses_vcc, 1
	.set _ZN2at6native12_GLOBAL__N_122pdist_kernel_cuda_implIdNS1_5distsIdE3oneEEEvPT_PKS6_llS6_dd.uses_flat_scratch, 0
	.set _ZN2at6native12_GLOBAL__N_122pdist_kernel_cuda_implIdNS1_5distsIdE3oneEEEvPT_PKS6_llS6_dd.has_dyn_sized_stack, 0
	.set _ZN2at6native12_GLOBAL__N_122pdist_kernel_cuda_implIdNS1_5distsIdE3oneEEEvPT_PKS6_llS6_dd.has_recursion, 0
	.set _ZN2at6native12_GLOBAL__N_122pdist_kernel_cuda_implIdNS1_5distsIdE3oneEEEvPT_PKS6_llS6_dd.has_indirect_call, 0
	.section	.AMDGPU.csdata,"",@progbits
; Kernel info:
; codeLenInByte = 1264
; TotalNumSgprs: 27
; NumVgprs: 20
; NumAgprs: 0
; TotalNumVgprs: 20
; ScratchSize: 0
; MemoryBound: 0
; FloatMode: 240
; IeeeMode: 1
; LDSByteSize: 2048 bytes/workgroup (compile time only)
; SGPRBlocks: 3
; VGPRBlocks: 2
; NumSGPRsForWavesPerEU: 27
; NumVGPRsForWavesPerEU: 20
; AccumOffset: 20
; Occupancy: 8
; WaveLimiterHint : 0
; COMPUTE_PGM_RSRC2:SCRATCH_EN: 0
; COMPUTE_PGM_RSRC2:USER_SGPR: 2
; COMPUTE_PGM_RSRC2:TRAP_HANDLER: 0
; COMPUTE_PGM_RSRC2:TGID_X_EN: 1
; COMPUTE_PGM_RSRC2:TGID_Y_EN: 0
; COMPUTE_PGM_RSRC2:TGID_Z_EN: 0
; COMPUTE_PGM_RSRC2:TIDIG_COMP_CNT: 0
; COMPUTE_PGM_RSRC3_GFX90A:ACCUM_OFFSET: 4
; COMPUTE_PGM_RSRC3_GFX90A:TG_SPLIT: 0
	.section	.text._ZN2at6native12_GLOBAL__N_122pdist_kernel_cuda_implIdNS1_5distsIdE3twoEEEvPT_PKS6_llS6_dd,"axG",@progbits,_ZN2at6native12_GLOBAL__N_122pdist_kernel_cuda_implIdNS1_5distsIdE3twoEEEvPT_PKS6_llS6_dd,comdat
	.globl	_ZN2at6native12_GLOBAL__N_122pdist_kernel_cuda_implIdNS1_5distsIdE3twoEEEvPT_PKS6_llS6_dd ; -- Begin function _ZN2at6native12_GLOBAL__N_122pdist_kernel_cuda_implIdNS1_5distsIdE3twoEEEvPT_PKS6_llS6_dd
	.p2align	8
	.type	_ZN2at6native12_GLOBAL__N_122pdist_kernel_cuda_implIdNS1_5distsIdE3twoEEEvPT_PKS6_llS6_dd,@function
_ZN2at6native12_GLOBAL__N_122pdist_kernel_cuda_implIdNS1_5distsIdE3twoEEEvPT_PKS6_llS6_dd: ; @_ZN2at6native12_GLOBAL__N_122pdist_kernel_cuda_implIdNS1_5distsIdE3twoEEEvPT_PKS6_llS6_dd
; %bb.0:
	s_load_dwordx8 s[4:11], s[0:1], 0x0
	s_load_dword s14, s[0:1], 0x44
	v_mov_b32_e32 v1, 0
	s_mov_b32 s3, 0
	v_mov_b64_e32 v[8:9], 0
	s_waitcnt lgkmcnt(0)
	v_cmp_gt_i64_e32 vcc, s[10:11], v[0:1]
	s_and_saveexec_b64 s[12:13], vcc
	s_cbranch_execz .LBB13_4
; %bb.1:
	s_load_dwordx4 s[16:19], s[0:1], 0x28
	s_lshl_b64 s[0:1], s[2:3], 1
	v_cvt_f64_u32_e32 v[2:3], s1
	v_ldexp_f64 v[2:3], v[2:3], 32
	v_cvt_f64_u32_e32 v[4:5], s0
	v_add_f64 v[2:3], v[2:3], v[4:5]
	s_mov_b32 s0, 0
	s_waitcnt lgkmcnt(0)
	v_add_f64 v[2:3], s[18:19], -v[2:3]
	s_brev_b32 s1, 8
	v_cmp_gt_f64_e32 vcc, s[0:1], v[2:3]
	s_and_b64 s[0:1], vcc, exec
	s_cselect_b32 s0, 0x100, 0
	v_ldexp_f64 v[2:3], v[2:3], s0
	v_rsq_f64_e32 v[4:5], v[2:3]
	s_cselect_b32 s0, 0xffffff80, 0
	v_mul_f64 v[6:7], v[2:3], v[4:5]
	v_mul_f64 v[4:5], v[4:5], 0.5
	v_fma_f64 v[8:9], -v[4:5], v[6:7], 0.5
	v_fmac_f64_e32 v[6:7], v[6:7], v[8:9]
	v_fma_f64 v[10:11], -v[6:7], v[6:7], v[2:3]
	v_fmac_f64_e32 v[4:5], v[4:5], v[8:9]
	v_fmac_f64_e32 v[6:7], v[10:11], v[4:5]
	v_fma_f64 v[8:9], -v[6:7], v[6:7], v[2:3]
	v_fmac_f64_e32 v[6:7], v[8:9], v[4:5]
	v_ldexp_f64 v[4:5], v[6:7], s0
	v_mov_b32_e32 v6, 0x260
	v_cmp_class_f64_e32 vcc, v[2:3], v6
	s_movk_i32 s0, 0xffe0
	v_lshlrev_b32_e32 v8, 3, v0
	v_cndmask_b32_e32 v3, v5, v3, vcc
	v_cndmask_b32_e32 v2, v4, v2, vcc
	v_add_f64 v[2:3], s[16:17], -v[2:3]
	v_trunc_f64_e32 v[2:3], v[2:3]
	v_ldexp_f64 v[4:5], v[2:3], s0
	v_floor_f64_e32 v[4:5], v[4:5]
	v_fmac_f64_e32 v[2:3], 0xc1f00000, v[4:5]
	v_cvt_u32_f64_e32 v2, v[2:3]
	v_cvt_i32_f64_e32 v3, v[4:5]
	v_mul_hi_u32 v5, s10, v2
	v_readfirstlane_b32 s16, v3
	v_mul_lo_u32 v3, s10, v3
	v_mul_lo_u32 v4, s11, v2
	v_add_u32_e32 v3, v5, v3
	v_readfirstlane_b32 s15, v2
	v_add_u32_e32 v3, v3, v4
	v_mul_lo_u32 v2, s10, v2
	v_lshlrev_b64 v[2:3], 3, v[2:3]
	v_lshl_add_u64 v[6:7], s[6:7], 0, v[2:3]
	s_lshl_b64 s[0:1], s[10:11], 3
	v_lshl_add_u64 v[4:5], v[6:7], 0, s[0:1]
	s_add_u32 s0, s15, 1
	s_addc_u32 s1, s16, 0
	s_add_u32 s17, s0, s2
	s_mul_hi_u32 s19, s8, s15
	s_mul_i32 s20, s8, s16
	s_addc_u32 s18, s1, 0
	s_mul_i32 s9, s9, s15
	s_add_i32 s19, s19, s20
	s_add_i32 s19, s19, s9
	s_mul_i32 s8, s8, s15
	s_sub_u32 s8, s17, s8
	s_mul_hi_u32 s17, s0, s15
	s_mul_i32 s16, s0, s16
	s_subb_u32 s9, s18, s19
	s_mul_i32 s1, s1, s15
	s_add_i32 s16, s17, s16
	s_add_i32 s16, s16, s1
	s_mul_i32 s0, s0, s15
	s_lshr_b32 s1, s16, 31
	s_add_u32 s0, s0, s1
	s_addc_u32 s1, s16, 0
	s_ashr_i64 s[0:1], s[0:1], 1
	s_add_u32 s0, s8, s0
	s_addc_u32 s1, s9, s1
	s_mul_i32 s1, s10, s1
	s_mul_hi_u32 s8, s10, s0
	s_add_i32 s1, s8, s1
	s_mul_i32 s8, s11, s0
	v_mov_b32_e32 v9, v1
	s_and_b32 s15, s14, 0xffff
	s_add_i32 s1, s1, s8
	s_mul_i32 s0, s10, s0
	v_lshl_add_u64 v[6:7], v[6:7], 0, v[8:9]
	s_lshl_b64 s[0:1], s[0:1], 3
	v_lshl_add_u64 v[10:11], s[6:7], 0, v[8:9]
	s_lshl_b32 s6, s15, 3
	s_mov_b32 s7, s3
	v_mov_b64_e32 v[8:9], 0
	s_mov_b64 s[8:9], 0
	s_lshl_b32 s10, s15, 3
	s_mov_b32 s11, s3
.LBB13_2:                               ; =>This Inner Loop Header: Depth=1
	v_lshl_add_u64 v[14:15], v[10:11], 0, v[2:3]
	v_lshl_add_u64 v[12:13], v[10:11], 0, s[0:1]
	global_load_dwordx2 v[16:17], v[14:15], off
	global_load_dwordx2 v[18:19], v[12:13], off
	v_lshl_add_u64 v[6:7], v[6:7], 0, s[10:11]
	v_cmp_ge_u64_e32 vcc, v[6:7], v[4:5]
	v_lshl_add_u64 v[10:11], v[10:11], 0, s[6:7]
	s_or_b64 s[8:9], vcc, s[8:9]
	s_waitcnt vmcnt(0)
	v_add_f64 v[12:13], v[16:17], -v[18:19]
	v_fmac_f64_e32 v[8:9], v[12:13], v[12:13]
	s_andn2_b64 exec, exec, s[8:9]
	s_cbranch_execnz .LBB13_2
; %bb.3:
	s_or_b64 exec, exec, s[8:9]
.LBB13_4:
	s_or_b64 exec, exec, s[12:13]
	v_mbcnt_lo_u32_b32 v1, -1, 0
	v_mbcnt_hi_u32_b32 v10, -1, v1
	v_mov_b32_e32 v1, 0x80
	v_lshl_or_b32 v1, v10, 2, v1
	ds_bpermute_b32 v2, v1, v8
	ds_bpermute_b32 v3, v1, v9
	v_and_b32_e32 v12, 63, v10
	v_cmp_gt_u32_e32 vcc, 48, v12
	v_and_b32_e32 v11, 63, v0
	s_waitcnt lgkmcnt(0)
	v_cndmask_b32_e64 v4, 0, 16, vcc
	v_add_f64 v[2:3], v[8:9], v[2:3]
	v_add_lshl_u32 v6, v4, v10, 2
	ds_bpermute_b32 v4, v6, v2
	ds_bpermute_b32 v5, v6, v3
	v_cmp_gt_u32_e32 vcc, 56, v12
	s_barrier
	s_waitcnt lgkmcnt(0)
	v_add_f64 v[2:3], v[2:3], v[4:5]
	v_cndmask_b32_e64 v4, 0, 8, vcc
	v_add_lshl_u32 v7, v4, v10, 2
	ds_bpermute_b32 v4, v7, v2
	ds_bpermute_b32 v5, v7, v3
	v_cmp_gt_u32_e32 vcc, 60, v12
	s_waitcnt lgkmcnt(0)
	v_add_f64 v[2:3], v[2:3], v[4:5]
	v_cndmask_b32_e64 v4, 0, 4, vcc
	v_add_lshl_u32 v8, v4, v10, 2
	ds_bpermute_b32 v4, v8, v2
	ds_bpermute_b32 v5, v8, v3
	v_cmp_gt_u32_e32 vcc, 62, v12
	s_waitcnt lgkmcnt(0)
	v_add_f64 v[2:3], v[2:3], v[4:5]
	v_cndmask_b32_e64 v4, 0, 2, vcc
	v_add_lshl_u32 v9, v4, v10, 2
	ds_bpermute_b32 v4, v9, v2
	ds_bpermute_b32 v5, v9, v3
	v_cmp_ne_u32_e32 vcc, 63, v12
	s_waitcnt lgkmcnt(0)
	v_add_f64 v[2:3], v[2:3], v[4:5]
	v_addc_co_u32_e32 v4, vcc, 0, v10, vcc
	v_lshlrev_b32_e32 v10, 2, v4
	ds_bpermute_b32 v4, v10, v2
	ds_bpermute_b32 v5, v10, v3
	v_cmp_eq_u32_e32 vcc, 0, v11
	s_and_saveexec_b64 s[0:1], vcc
	s_cbranch_execz .LBB13_6
; %bb.5:
	v_lshrrev_b32_e32 v12, 3, v0
	s_waitcnt lgkmcnt(0)
	v_add_f64 v[2:3], v[2:3], v[4:5]
	ds_write_b64 v12, v[2:3]
.LBB13_6:
	s_or_b64 exec, exec, s[0:1]
	s_and_b32 s0, 0xffff, s14
	s_lshr_b32 s0, s0, 6
	v_cmp_gt_u32_e32 vcc, s0, v0
	v_mov_b64_e32 v[2:3], 0
	s_waitcnt lgkmcnt(0)
	s_barrier
	s_and_saveexec_b64 s[0:1], vcc
	s_cbranch_execnz .LBB13_10
; %bb.7:
	s_or_b64 exec, exec, s[0:1]
	v_cmp_gt_u32_e32 vcc, 64, v0
	s_and_saveexec_b64 s[0:1], vcc
	s_cbranch_execnz .LBB13_11
.LBB13_8:
	s_or_b64 exec, exec, s[0:1]
	v_cmp_eq_u32_e32 vcc, 0, v0
	s_and_saveexec_b64 s[0:1], vcc
	s_cbranch_execnz .LBB13_12
.LBB13_9:
	s_endpgm
.LBB13_10:
	v_lshlrev_b32_e32 v2, 3, v11
	ds_read_b64 v[2:3], v2
	s_or_b64 exec, exec, s[0:1]
	v_cmp_gt_u32_e32 vcc, 64, v0
	s_and_saveexec_b64 s[0:1], vcc
	s_cbranch_execz .LBB13_8
.LBB13_11:
	s_waitcnt lgkmcnt(0)
	ds_bpermute_b32 v4, v1, v2
	ds_bpermute_b32 v5, v1, v3
	s_waitcnt lgkmcnt(0)
	v_add_f64 v[2:3], v[2:3], v[4:5]
	ds_bpermute_b32 v4, v6, v2
	ds_bpermute_b32 v5, v6, v3
	s_waitcnt lgkmcnt(0)
	v_add_f64 v[2:3], v[2:3], v[4:5]
	;; [unrolled: 4-line block ×6, first 2 shown]
	s_or_b64 exec, exec, s[0:1]
	v_cmp_eq_u32_e32 vcc, 0, v0
	s_and_saveexec_b64 s[0:1], vcc
	s_cbranch_execz .LBB13_9
.LBB13_12:
	s_lshl_b64 s[0:1], s[2:3], 3
	s_mov_b32 s2, 0
	s_brev_b32 s3, 8
	v_mov_b32_e32 v0, 0x100
	s_waitcnt lgkmcnt(0)
	v_cmp_gt_f64_e32 vcc, s[2:3], v[2:3]
	s_add_u32 s0, s4, s0
	s_addc_u32 s1, s5, s1
	v_cndmask_b32_e32 v0, 0, v0, vcc
	v_ldexp_f64 v[0:1], v[2:3], v0
	v_rsq_f64_e32 v[2:3], v[0:1]
	v_mov_b32_e32 v10, 0
	v_mul_f64 v[4:5], v[0:1], v[2:3]
	v_mul_f64 v[2:3], v[2:3], 0.5
	v_fma_f64 v[6:7], -v[2:3], v[4:5], 0.5
	v_fmac_f64_e32 v[4:5], v[4:5], v[6:7]
	v_fma_f64 v[8:9], -v[4:5], v[4:5], v[0:1]
	v_fmac_f64_e32 v[2:3], v[2:3], v[6:7]
	v_fmac_f64_e32 v[4:5], v[8:9], v[2:3]
	v_fma_f64 v[6:7], -v[4:5], v[4:5], v[0:1]
	v_fmac_f64_e32 v[4:5], v[6:7], v[2:3]
	v_mov_b32_e32 v2, 0xffffff80
	v_cndmask_b32_e32 v2, 0, v2, vcc
	v_ldexp_f64 v[2:3], v[4:5], v2
	v_mov_b32_e32 v4, 0x260
	v_cmp_class_f64_e32 vcc, v[0:1], v4
	s_nop 1
	v_cndmask_b32_e32 v1, v3, v1, vcc
	v_cndmask_b32_e32 v0, v2, v0, vcc
	global_store_dwordx2 v10, v[0:1], s[0:1]
	s_endpgm
	.section	.rodata,"a",@progbits
	.p2align	6, 0x0
	.amdhsa_kernel _ZN2at6native12_GLOBAL__N_122pdist_kernel_cuda_implIdNS1_5distsIdE3twoEEEvPT_PKS6_llS6_dd
		.amdhsa_group_segment_fixed_size 2048
		.amdhsa_private_segment_fixed_size 0
		.amdhsa_kernarg_size 312
		.amdhsa_user_sgpr_count 2
		.amdhsa_user_sgpr_dispatch_ptr 0
		.amdhsa_user_sgpr_queue_ptr 0
		.amdhsa_user_sgpr_kernarg_segment_ptr 1
		.amdhsa_user_sgpr_dispatch_id 0
		.amdhsa_user_sgpr_kernarg_preload_length 0
		.amdhsa_user_sgpr_kernarg_preload_offset 0
		.amdhsa_user_sgpr_private_segment_size 0
		.amdhsa_uses_dynamic_stack 0
		.amdhsa_enable_private_segment 0
		.amdhsa_system_sgpr_workgroup_id_x 1
		.amdhsa_system_sgpr_workgroup_id_y 0
		.amdhsa_system_sgpr_workgroup_id_z 0
		.amdhsa_system_sgpr_workgroup_info 0
		.amdhsa_system_vgpr_workitem_id 0
		.amdhsa_next_free_vgpr 20
		.amdhsa_next_free_sgpr 21
		.amdhsa_accum_offset 20
		.amdhsa_reserve_vcc 1
		.amdhsa_float_round_mode_32 0
		.amdhsa_float_round_mode_16_64 0
		.amdhsa_float_denorm_mode_32 3
		.amdhsa_float_denorm_mode_16_64 3
		.amdhsa_dx10_clamp 1
		.amdhsa_ieee_mode 1
		.amdhsa_fp16_overflow 0
		.amdhsa_tg_split 0
		.amdhsa_exception_fp_ieee_invalid_op 0
		.amdhsa_exception_fp_denorm_src 0
		.amdhsa_exception_fp_ieee_div_zero 0
		.amdhsa_exception_fp_ieee_overflow 0
		.amdhsa_exception_fp_ieee_underflow 0
		.amdhsa_exception_fp_ieee_inexact 0
		.amdhsa_exception_int_div_zero 0
	.end_amdhsa_kernel
	.section	.text._ZN2at6native12_GLOBAL__N_122pdist_kernel_cuda_implIdNS1_5distsIdE3twoEEEvPT_PKS6_llS6_dd,"axG",@progbits,_ZN2at6native12_GLOBAL__N_122pdist_kernel_cuda_implIdNS1_5distsIdE3twoEEEvPT_PKS6_llS6_dd,comdat
.Lfunc_end13:
	.size	_ZN2at6native12_GLOBAL__N_122pdist_kernel_cuda_implIdNS1_5distsIdE3twoEEEvPT_PKS6_llS6_dd, .Lfunc_end13-_ZN2at6native12_GLOBAL__N_122pdist_kernel_cuda_implIdNS1_5distsIdE3twoEEEvPT_PKS6_llS6_dd
                                        ; -- End function
	.set _ZN2at6native12_GLOBAL__N_122pdist_kernel_cuda_implIdNS1_5distsIdE3twoEEEvPT_PKS6_llS6_dd.num_vgpr, 20
	.set _ZN2at6native12_GLOBAL__N_122pdist_kernel_cuda_implIdNS1_5distsIdE3twoEEEvPT_PKS6_llS6_dd.num_agpr, 0
	.set _ZN2at6native12_GLOBAL__N_122pdist_kernel_cuda_implIdNS1_5distsIdE3twoEEEvPT_PKS6_llS6_dd.numbered_sgpr, 21
	.set _ZN2at6native12_GLOBAL__N_122pdist_kernel_cuda_implIdNS1_5distsIdE3twoEEEvPT_PKS6_llS6_dd.num_named_barrier, 0
	.set _ZN2at6native12_GLOBAL__N_122pdist_kernel_cuda_implIdNS1_5distsIdE3twoEEEvPT_PKS6_llS6_dd.private_seg_size, 0
	.set _ZN2at6native12_GLOBAL__N_122pdist_kernel_cuda_implIdNS1_5distsIdE3twoEEEvPT_PKS6_llS6_dd.uses_vcc, 1
	.set _ZN2at6native12_GLOBAL__N_122pdist_kernel_cuda_implIdNS1_5distsIdE3twoEEEvPT_PKS6_llS6_dd.uses_flat_scratch, 0
	.set _ZN2at6native12_GLOBAL__N_122pdist_kernel_cuda_implIdNS1_5distsIdE3twoEEEvPT_PKS6_llS6_dd.has_dyn_sized_stack, 0
	.set _ZN2at6native12_GLOBAL__N_122pdist_kernel_cuda_implIdNS1_5distsIdE3twoEEEvPT_PKS6_llS6_dd.has_recursion, 0
	.set _ZN2at6native12_GLOBAL__N_122pdist_kernel_cuda_implIdNS1_5distsIdE3twoEEEvPT_PKS6_llS6_dd.has_indirect_call, 0
	.section	.AMDGPU.csdata,"",@progbits
; Kernel info:
; codeLenInByte = 1396
; TotalNumSgprs: 27
; NumVgprs: 20
; NumAgprs: 0
; TotalNumVgprs: 20
; ScratchSize: 0
; MemoryBound: 0
; FloatMode: 240
; IeeeMode: 1
; LDSByteSize: 2048 bytes/workgroup (compile time only)
; SGPRBlocks: 3
; VGPRBlocks: 2
; NumSGPRsForWavesPerEU: 27
; NumVGPRsForWavesPerEU: 20
; AccumOffset: 20
; Occupancy: 8
; WaveLimiterHint : 0
; COMPUTE_PGM_RSRC2:SCRATCH_EN: 0
; COMPUTE_PGM_RSRC2:USER_SGPR: 2
; COMPUTE_PGM_RSRC2:TRAP_HANDLER: 0
; COMPUTE_PGM_RSRC2:TGID_X_EN: 1
; COMPUTE_PGM_RSRC2:TGID_Y_EN: 0
; COMPUTE_PGM_RSRC2:TGID_Z_EN: 0
; COMPUTE_PGM_RSRC2:TIDIG_COMP_CNT: 0
; COMPUTE_PGM_RSRC3_GFX90A:ACCUM_OFFSET: 4
; COMPUTE_PGM_RSRC3_GFX90A:TG_SPLIT: 0
	.section	.text._ZN2at6native12_GLOBAL__N_122pdist_kernel_cuda_implIdNS1_5distsIdE3infEEEvPT_PKS6_llS6_dd,"axG",@progbits,_ZN2at6native12_GLOBAL__N_122pdist_kernel_cuda_implIdNS1_5distsIdE3infEEEvPT_PKS6_llS6_dd,comdat
	.globl	_ZN2at6native12_GLOBAL__N_122pdist_kernel_cuda_implIdNS1_5distsIdE3infEEEvPT_PKS6_llS6_dd ; -- Begin function _ZN2at6native12_GLOBAL__N_122pdist_kernel_cuda_implIdNS1_5distsIdE3infEEEvPT_PKS6_llS6_dd
	.p2align	8
	.type	_ZN2at6native12_GLOBAL__N_122pdist_kernel_cuda_implIdNS1_5distsIdE3infEEEvPT_PKS6_llS6_dd,@function
_ZN2at6native12_GLOBAL__N_122pdist_kernel_cuda_implIdNS1_5distsIdE3infEEEvPT_PKS6_llS6_dd: ; @_ZN2at6native12_GLOBAL__N_122pdist_kernel_cuda_implIdNS1_5distsIdE3infEEEvPT_PKS6_llS6_dd
; %bb.0:
	s_load_dwordx8 s[4:11], s[0:1], 0x0
	s_load_dword s14, s[0:1], 0x44
	v_mov_b32_e32 v1, 0
	s_mov_b32 s3, 0
	v_mov_b64_e32 v[8:9], 0
	s_waitcnt lgkmcnt(0)
	v_cmp_gt_i64_e32 vcc, s[10:11], v[0:1]
	s_and_saveexec_b64 s[12:13], vcc
	s_cbranch_execz .LBB14_4
; %bb.1:
	s_load_dwordx4 s[16:19], s[0:1], 0x28
	s_lshl_b64 s[0:1], s[2:3], 1
	v_cvt_f64_u32_e32 v[2:3], s1
	v_ldexp_f64 v[2:3], v[2:3], 32
	v_cvt_f64_u32_e32 v[4:5], s0
	v_add_f64 v[2:3], v[2:3], v[4:5]
	s_mov_b32 s0, 0
	s_waitcnt lgkmcnt(0)
	v_add_f64 v[2:3], s[18:19], -v[2:3]
	s_brev_b32 s1, 8
	v_cmp_gt_f64_e32 vcc, s[0:1], v[2:3]
	s_and_b64 s[0:1], vcc, exec
	s_cselect_b32 s0, 0x100, 0
	v_ldexp_f64 v[2:3], v[2:3], s0
	v_rsq_f64_e32 v[4:5], v[2:3]
	s_cselect_b32 s0, 0xffffff80, 0
	v_mul_f64 v[6:7], v[2:3], v[4:5]
	v_mul_f64 v[4:5], v[4:5], 0.5
	v_fma_f64 v[8:9], -v[4:5], v[6:7], 0.5
	v_fmac_f64_e32 v[6:7], v[6:7], v[8:9]
	v_fma_f64 v[10:11], -v[6:7], v[6:7], v[2:3]
	v_fmac_f64_e32 v[4:5], v[4:5], v[8:9]
	v_fmac_f64_e32 v[6:7], v[10:11], v[4:5]
	v_fma_f64 v[8:9], -v[6:7], v[6:7], v[2:3]
	v_fmac_f64_e32 v[6:7], v[8:9], v[4:5]
	v_ldexp_f64 v[4:5], v[6:7], s0
	v_mov_b32_e32 v6, 0x260
	v_cmp_class_f64_e32 vcc, v[2:3], v6
	s_movk_i32 s0, 0xffe0
	v_lshlrev_b32_e32 v8, 3, v0
	v_cndmask_b32_e32 v3, v5, v3, vcc
	v_cndmask_b32_e32 v2, v4, v2, vcc
	v_add_f64 v[2:3], s[16:17], -v[2:3]
	v_trunc_f64_e32 v[2:3], v[2:3]
	v_ldexp_f64 v[4:5], v[2:3], s0
	v_floor_f64_e32 v[4:5], v[4:5]
	v_fmac_f64_e32 v[2:3], 0xc1f00000, v[4:5]
	v_cvt_u32_f64_e32 v2, v[2:3]
	v_cvt_i32_f64_e32 v3, v[4:5]
	v_mul_hi_u32 v5, s10, v2
	v_readfirstlane_b32 s16, v3
	v_mul_lo_u32 v3, s10, v3
	v_mul_lo_u32 v4, s11, v2
	v_add_u32_e32 v3, v5, v3
	v_readfirstlane_b32 s15, v2
	v_add_u32_e32 v3, v3, v4
	v_mul_lo_u32 v2, s10, v2
	v_lshlrev_b64 v[2:3], 3, v[2:3]
	v_lshl_add_u64 v[6:7], s[6:7], 0, v[2:3]
	s_lshl_b64 s[0:1], s[10:11], 3
	v_lshl_add_u64 v[4:5], v[6:7], 0, s[0:1]
	s_add_u32 s0, s15, 1
	s_addc_u32 s1, s16, 0
	s_add_u32 s17, s0, s2
	s_mul_hi_u32 s19, s8, s15
	s_mul_i32 s20, s8, s16
	s_addc_u32 s18, s1, 0
	s_mul_i32 s9, s9, s15
	s_add_i32 s19, s19, s20
	s_add_i32 s19, s19, s9
	s_mul_i32 s8, s8, s15
	s_sub_u32 s8, s17, s8
	s_mul_hi_u32 s17, s0, s15
	s_mul_i32 s16, s0, s16
	s_subb_u32 s9, s18, s19
	s_mul_i32 s1, s1, s15
	s_add_i32 s16, s17, s16
	s_add_i32 s16, s16, s1
	s_mul_i32 s0, s0, s15
	s_lshr_b32 s1, s16, 31
	s_add_u32 s0, s0, s1
	s_addc_u32 s1, s16, 0
	s_ashr_i64 s[0:1], s[0:1], 1
	s_add_u32 s0, s8, s0
	s_addc_u32 s1, s9, s1
	s_mul_i32 s1, s10, s1
	s_mul_hi_u32 s8, s10, s0
	s_add_i32 s1, s8, s1
	s_mul_i32 s8, s11, s0
	v_mov_b32_e32 v9, v1
	s_and_b32 s15, s14, 0xffff
	s_add_i32 s1, s1, s8
	s_mul_i32 s0, s10, s0
	v_lshl_add_u64 v[6:7], v[6:7], 0, v[8:9]
	s_lshl_b64 s[0:1], s[0:1], 3
	v_lshl_add_u64 v[10:11], s[6:7], 0, v[8:9]
	s_lshl_b32 s6, s15, 3
	s_mov_b32 s7, s3
	v_mov_b64_e32 v[8:9], 0
	s_mov_b64 s[8:9], 0
	s_lshl_b32 s10, s15, 3
	s_mov_b32 s11, s3
.LBB14_2:                               ; =>This Inner Loop Header: Depth=1
	v_lshl_add_u64 v[14:15], v[10:11], 0, v[2:3]
	v_lshl_add_u64 v[12:13], v[10:11], 0, s[0:1]
	global_load_dwordx2 v[16:17], v[14:15], off
	global_load_dwordx2 v[18:19], v[12:13], off
	v_lshl_add_u64 v[6:7], v[6:7], 0, s[10:11]
	v_cmp_ge_u64_e32 vcc, v[6:7], v[4:5]
	s_or_b64 s[8:9], vcc, s[8:9]
	v_lshl_add_u64 v[10:11], v[10:11], 0, s[6:7]
	s_waitcnt vmcnt(0)
	v_add_f64 v[12:13], v[16:17], -v[18:19]
	v_and_b32_e32 v1, 0x7fffffff, v13
	v_cmp_gt_f64_e64 vcc, |v[12:13]|, v[8:9]
	s_nop 1
	v_cndmask_b32_e32 v9, v9, v1, vcc
	v_cndmask_b32_e32 v8, v8, v12, vcc
	s_andn2_b64 exec, exec, s[8:9]
	s_cbranch_execnz .LBB14_2
; %bb.3:
	s_or_b64 exec, exec, s[8:9]
.LBB14_4:
	s_or_b64 exec, exec, s[12:13]
	v_mbcnt_lo_u32_b32 v1, -1, 0
	v_mbcnt_hi_u32_b32 v6, -1, v1
	v_mov_b32_e32 v1, 0x80
	v_lshl_or_b32 v1, v6, 2, v1
	ds_bpermute_b32 v2, v1, v8
	ds_bpermute_b32 v3, v1, v9
	v_and_b32_e32 v11, 63, v6
	v_and_b32_e32 v12, 63, v0
	s_waitcnt lgkmcnt(0)
	s_barrier
	v_cmp_lt_f64_e32 vcc, v[8:9], v[2:3]
	s_nop 1
	v_cndmask_b32_e32 v3, v9, v3, vcc
	v_cndmask_b32_e32 v2, v8, v2, vcc
	v_cmp_gt_u32_e32 vcc, 48, v11
	s_nop 1
	v_cndmask_b32_e64 v4, 0, 16, vcc
	v_add_lshl_u32 v7, v4, v6, 2
	ds_bpermute_b32 v5, v7, v3
	ds_bpermute_b32 v4, v7, v2
	s_waitcnt lgkmcnt(0)
	v_cmp_lt_f64_e32 vcc, v[2:3], v[4:5]
	s_nop 1
	v_cndmask_b32_e32 v3, v3, v5, vcc
	v_cndmask_b32_e32 v2, v2, v4, vcc
	v_cmp_gt_u32_e32 vcc, 56, v11
	s_nop 1
	v_cndmask_b32_e64 v4, 0, 8, vcc
	v_add_lshl_u32 v8, v4, v6, 2
	ds_bpermute_b32 v4, v8, v2
	ds_bpermute_b32 v5, v8, v3
	s_waitcnt lgkmcnt(0)
	;; [unrolled: 11-line block ×4, first 2 shown]
	v_cmp_lt_f64_e32 vcc, v[2:3], v[4:5]
	s_nop 1
	v_cndmask_b32_e32 v3, v3, v5, vcc
	v_cndmask_b32_e32 v2, v2, v4, vcc
	v_cmp_ne_u32_e32 vcc, 63, v11
	s_nop 1
	v_addc_co_u32_e32 v4, vcc, 0, v6, vcc
	v_lshlrev_b32_e32 v11, 2, v4
	ds_bpermute_b32 v4, v11, v2
	ds_bpermute_b32 v6, v11, v3
	v_cmp_eq_u32_e32 vcc, 0, v12
	s_and_saveexec_b64 s[0:1], vcc
	s_cbranch_execz .LBB14_6
; %bb.5:
	s_waitcnt lgkmcnt(0)
	v_mov_b32_e32 v5, v6
	v_cmp_lt_f64_e32 vcc, v[2:3], v[4:5]
	v_lshrrev_b32_e32 v13, 3, v0
	s_nop 0
	v_cndmask_b32_e32 v3, v3, v6, vcc
	v_cndmask_b32_e32 v2, v2, v4, vcc
	ds_write_b64 v13, v[2:3]
.LBB14_6:
	s_or_b64 exec, exec, s[0:1]
	s_and_b32 s0, 0xffff, s14
	s_lshr_b32 s0, s0, 6
	v_cmp_gt_u32_e32 vcc, s0, v0
	v_mov_b64_e32 v[2:3], 0
	s_waitcnt lgkmcnt(0)
	s_barrier
	s_and_saveexec_b64 s[0:1], vcc
	s_cbranch_execnz .LBB14_10
; %bb.7:
	s_or_b64 exec, exec, s[0:1]
	v_cmp_gt_u32_e32 vcc, 64, v0
	s_and_saveexec_b64 s[0:1], vcc
	s_cbranch_execnz .LBB14_11
.LBB14_8:
	s_or_b64 exec, exec, s[0:1]
	v_cmp_eq_u32_e32 vcc, 0, v0
	s_and_saveexec_b64 s[0:1], vcc
	s_cbranch_execnz .LBB14_12
.LBB14_9:
	s_endpgm
.LBB14_10:
	v_lshlrev_b32_e32 v2, 3, v12
	ds_read_b64 v[2:3], v2
	s_or_b64 exec, exec, s[0:1]
	v_cmp_gt_u32_e32 vcc, 64, v0
	s_and_saveexec_b64 s[0:1], vcc
	s_cbranch_execz .LBB14_8
.LBB14_11:
	s_waitcnt lgkmcnt(0)
	ds_bpermute_b32 v4, v1, v3
	ds_bpermute_b32 v12, v1, v2
	s_waitcnt lgkmcnt(1)
	v_mov_b32_e32 v13, v4
	s_waitcnt lgkmcnt(0)
	v_cmp_lt_f64_e32 vcc, v[2:3], v[12:13]
	s_nop 1
	v_cndmask_b32_e32 v3, v3, v4, vcc
	v_cndmask_b32_e32 v2, v2, v12, vcc
	ds_bpermute_b32 v4, v7, v3
	ds_bpermute_b32 v6, v7, v2
	s_waitcnt lgkmcnt(1)
	v_mov_b32_e32 v7, v4
	s_waitcnt lgkmcnt(0)
	v_cmp_lt_f64_e32 vcc, v[2:3], v[6:7]
	s_nop 1
	v_cndmask_b32_e32 v3, v3, v4, vcc
	v_cndmask_b32_e32 v2, v2, v6, vcc
	ds_bpermute_b32 v4, v8, v3
	ds_bpermute_b32 v6, v8, v2
	s_waitcnt lgkmcnt(1)
	v_mov_b32_e32 v7, v4
	s_waitcnt lgkmcnt(0)
	v_cmp_lt_f64_e32 vcc, v[2:3], v[6:7]
	s_nop 1
	v_cndmask_b32_e32 v3, v3, v4, vcc
	v_cndmask_b32_e32 v2, v2, v6, vcc
	ds_bpermute_b32 v4, v9, v3
	ds_bpermute_b32 v6, v9, v2
	s_waitcnt lgkmcnt(1)
	v_mov_b32_e32 v7, v4
	s_waitcnt lgkmcnt(0)
	v_cmp_lt_f64_e32 vcc, v[2:3], v[6:7]
	s_nop 1
	v_cndmask_b32_e32 v3, v3, v4, vcc
	v_cndmask_b32_e32 v2, v2, v6, vcc
	ds_bpermute_b32 v4, v10, v3
	ds_bpermute_b32 v6, v10, v2
	s_waitcnt lgkmcnt(1)
	v_mov_b32_e32 v7, v4
	s_waitcnt lgkmcnt(0)
	v_cmp_lt_f64_e32 vcc, v[2:3], v[6:7]
	s_nop 1
	v_cndmask_b32_e32 v3, v3, v4, vcc
	v_cndmask_b32_e32 v2, v2, v6, vcc
	ds_bpermute_b32 v4, v11, v3
	ds_bpermute_b32 v6, v11, v2
	s_waitcnt lgkmcnt(1)
	v_mov_b32_e32 v7, v4
	s_waitcnt lgkmcnt(0)
	v_cmp_lt_f64_e32 vcc, v[2:3], v[6:7]
	s_nop 1
	v_cndmask_b32_e32 v3, v3, v4, vcc
	v_cndmask_b32_e32 v2, v2, v6, vcc
	s_or_b64 exec, exec, s[0:1]
	v_cmp_eq_u32_e32 vcc, 0, v0
	s_and_saveexec_b64 s[0:1], vcc
	s_cbranch_execz .LBB14_9
.LBB14_12:
	s_lshl_b64 s[0:1], s[2:3], 3
	s_add_u32 s0, s4, s0
	s_addc_u32 s1, s5, s1
	v_mov_b32_e32 v0, 0
	s_waitcnt lgkmcnt(0)
	global_store_dwordx2 v0, v[2:3], s[0:1]
	s_endpgm
	.section	.rodata,"a",@progbits
	.p2align	6, 0x0
	.amdhsa_kernel _ZN2at6native12_GLOBAL__N_122pdist_kernel_cuda_implIdNS1_5distsIdE3infEEEvPT_PKS6_llS6_dd
		.amdhsa_group_segment_fixed_size 2048
		.amdhsa_private_segment_fixed_size 0
		.amdhsa_kernarg_size 312
		.amdhsa_user_sgpr_count 2
		.amdhsa_user_sgpr_dispatch_ptr 0
		.amdhsa_user_sgpr_queue_ptr 0
		.amdhsa_user_sgpr_kernarg_segment_ptr 1
		.amdhsa_user_sgpr_dispatch_id 0
		.amdhsa_user_sgpr_kernarg_preload_length 0
		.amdhsa_user_sgpr_kernarg_preload_offset 0
		.amdhsa_user_sgpr_private_segment_size 0
		.amdhsa_uses_dynamic_stack 0
		.amdhsa_enable_private_segment 0
		.amdhsa_system_sgpr_workgroup_id_x 1
		.amdhsa_system_sgpr_workgroup_id_y 0
		.amdhsa_system_sgpr_workgroup_id_z 0
		.amdhsa_system_sgpr_workgroup_info 0
		.amdhsa_system_vgpr_workitem_id 0
		.amdhsa_next_free_vgpr 20
		.amdhsa_next_free_sgpr 21
		.amdhsa_accum_offset 20
		.amdhsa_reserve_vcc 1
		.amdhsa_float_round_mode_32 0
		.amdhsa_float_round_mode_16_64 0
		.amdhsa_float_denorm_mode_32 3
		.amdhsa_float_denorm_mode_16_64 3
		.amdhsa_dx10_clamp 1
		.amdhsa_ieee_mode 1
		.amdhsa_fp16_overflow 0
		.amdhsa_tg_split 0
		.amdhsa_exception_fp_ieee_invalid_op 0
		.amdhsa_exception_fp_denorm_src 0
		.amdhsa_exception_fp_ieee_div_zero 0
		.amdhsa_exception_fp_ieee_overflow 0
		.amdhsa_exception_fp_ieee_underflow 0
		.amdhsa_exception_fp_ieee_inexact 0
		.amdhsa_exception_int_div_zero 0
	.end_amdhsa_kernel
	.section	.text._ZN2at6native12_GLOBAL__N_122pdist_kernel_cuda_implIdNS1_5distsIdE3infEEEvPT_PKS6_llS6_dd,"axG",@progbits,_ZN2at6native12_GLOBAL__N_122pdist_kernel_cuda_implIdNS1_5distsIdE3infEEEvPT_PKS6_llS6_dd,comdat
.Lfunc_end14:
	.size	_ZN2at6native12_GLOBAL__N_122pdist_kernel_cuda_implIdNS1_5distsIdE3infEEEvPT_PKS6_llS6_dd, .Lfunc_end14-_ZN2at6native12_GLOBAL__N_122pdist_kernel_cuda_implIdNS1_5distsIdE3infEEEvPT_PKS6_llS6_dd
                                        ; -- End function
	.set _ZN2at6native12_GLOBAL__N_122pdist_kernel_cuda_implIdNS1_5distsIdE3infEEEvPT_PKS6_llS6_dd.num_vgpr, 20
	.set _ZN2at6native12_GLOBAL__N_122pdist_kernel_cuda_implIdNS1_5distsIdE3infEEEvPT_PKS6_llS6_dd.num_agpr, 0
	.set _ZN2at6native12_GLOBAL__N_122pdist_kernel_cuda_implIdNS1_5distsIdE3infEEEvPT_PKS6_llS6_dd.numbered_sgpr, 21
	.set _ZN2at6native12_GLOBAL__N_122pdist_kernel_cuda_implIdNS1_5distsIdE3infEEEvPT_PKS6_llS6_dd.num_named_barrier, 0
	.set _ZN2at6native12_GLOBAL__N_122pdist_kernel_cuda_implIdNS1_5distsIdE3infEEEvPT_PKS6_llS6_dd.private_seg_size, 0
	.set _ZN2at6native12_GLOBAL__N_122pdist_kernel_cuda_implIdNS1_5distsIdE3infEEEvPT_PKS6_llS6_dd.uses_vcc, 1
	.set _ZN2at6native12_GLOBAL__N_122pdist_kernel_cuda_implIdNS1_5distsIdE3infEEEvPT_PKS6_llS6_dd.uses_flat_scratch, 0
	.set _ZN2at6native12_GLOBAL__N_122pdist_kernel_cuda_implIdNS1_5distsIdE3infEEEvPT_PKS6_llS6_dd.has_dyn_sized_stack, 0
	.set _ZN2at6native12_GLOBAL__N_122pdist_kernel_cuda_implIdNS1_5distsIdE3infEEEvPT_PKS6_llS6_dd.has_recursion, 0
	.set _ZN2at6native12_GLOBAL__N_122pdist_kernel_cuda_implIdNS1_5distsIdE3infEEEvPT_PKS6_llS6_dd.has_indirect_call, 0
	.section	.AMDGPU.csdata,"",@progbits
; Kernel info:
; codeLenInByte = 1452
; TotalNumSgprs: 27
; NumVgprs: 20
; NumAgprs: 0
; TotalNumVgprs: 20
; ScratchSize: 0
; MemoryBound: 0
; FloatMode: 240
; IeeeMode: 1
; LDSByteSize: 2048 bytes/workgroup (compile time only)
; SGPRBlocks: 3
; VGPRBlocks: 2
; NumSGPRsForWavesPerEU: 27
; NumVGPRsForWavesPerEU: 20
; AccumOffset: 20
; Occupancy: 8
; WaveLimiterHint : 0
; COMPUTE_PGM_RSRC2:SCRATCH_EN: 0
; COMPUTE_PGM_RSRC2:USER_SGPR: 2
; COMPUTE_PGM_RSRC2:TRAP_HANDLER: 0
; COMPUTE_PGM_RSRC2:TGID_X_EN: 1
; COMPUTE_PGM_RSRC2:TGID_Y_EN: 0
; COMPUTE_PGM_RSRC2:TGID_Z_EN: 0
; COMPUTE_PGM_RSRC2:TIDIG_COMP_CNT: 0
; COMPUTE_PGM_RSRC3_GFX90A:ACCUM_OFFSET: 4
; COMPUTE_PGM_RSRC3_GFX90A:TG_SPLIT: 0
	.section	.text._ZN2at6native12_GLOBAL__N_122pdist_kernel_cuda_implIfNS1_5distsIfE1pEEEvPT_PKS6_llS6_dd,"axG",@progbits,_ZN2at6native12_GLOBAL__N_122pdist_kernel_cuda_implIfNS1_5distsIfE1pEEEvPT_PKS6_llS6_dd,comdat
	.globl	_ZN2at6native12_GLOBAL__N_122pdist_kernel_cuda_implIfNS1_5distsIfE1pEEEvPT_PKS6_llS6_dd ; -- Begin function _ZN2at6native12_GLOBAL__N_122pdist_kernel_cuda_implIfNS1_5distsIfE1pEEEvPT_PKS6_llS6_dd
	.p2align	8
	.type	_ZN2at6native12_GLOBAL__N_122pdist_kernel_cuda_implIfNS1_5distsIfE1pEEEvPT_PKS6_llS6_dd,@function
_ZN2at6native12_GLOBAL__N_122pdist_kernel_cuda_implIfNS1_5distsIfE1pEEEvPT_PKS6_llS6_dd: ; @_ZN2at6native12_GLOBAL__N_122pdist_kernel_cuda_implIfNS1_5distsIfE1pEEEvPT_PKS6_llS6_dd
; %bb.0:
	s_load_dwordx8 s[12:19], s[0:1], 0x0
	s_load_dword s24, s[0:1], 0x20
	s_load_dword s25, s[0:1], 0x44
	v_mov_b32_e32 v1, 0
	s_mov_b32 s3, 0
	s_waitcnt lgkmcnt(0)
	v_cmp_gt_i64_e32 vcc, s[18:19], v[0:1]
	s_and_saveexec_b64 s[20:21], vcc
	s_cbranch_execz .LBB15_4
; %bb.1:
	s_load_dwordx4 s[4:7], s[0:1], 0x28
	s_lshl_b64 s[0:1], s[2:3], 1
	v_cvt_f64_u32_e32 v[2:3], s1
	v_ldexp_f64 v[2:3], v[2:3], 32
	v_cvt_f64_u32_e32 v[4:5], s0
	v_add_f64 v[2:3], v[2:3], v[4:5]
	s_mov_b32 s0, 0
	s_waitcnt lgkmcnt(0)
	v_add_f64 v[2:3], s[6:7], -v[2:3]
	s_brev_b32 s1, 8
	v_cmp_gt_f64_e32 vcc, s[0:1], v[2:3]
	s_and_b64 s[0:1], vcc, exec
	s_cselect_b32 s0, 0x100, 0
	v_ldexp_f64 v[2:3], v[2:3], s0
	v_rsq_f64_e32 v[4:5], v[2:3]
	s_cselect_b32 s0, 0xffffff80, 0
	v_mov_b32_e32 v1, 0x260
	v_cmp_class_f64_e32 vcc, v[2:3], v1
	v_mul_f64 v[6:7], v[2:3], v[4:5]
	v_mul_f64 v[4:5], v[4:5], 0.5
	v_fma_f64 v[8:9], -v[4:5], v[6:7], 0.5
	v_fmac_f64_e32 v[6:7], v[6:7], v[8:9]
	v_fma_f64 v[10:11], -v[6:7], v[6:7], v[2:3]
	v_fmac_f64_e32 v[4:5], v[4:5], v[8:9]
	v_fmac_f64_e32 v[6:7], v[10:11], v[4:5]
	v_fma_f64 v[8:9], -v[6:7], v[6:7], v[2:3]
	v_fmac_f64_e32 v[6:7], v[8:9], v[4:5]
	v_ldexp_f64 v[4:5], v[6:7], s0
	v_cndmask_b32_e32 v3, v5, v3, vcc
	v_cndmask_b32_e32 v2, v4, v2, vcc
	v_add_f64 v[2:3], s[4:5], -v[2:3]
	v_trunc_f64_e32 v[2:3], v[2:3]
	s_movk_i32 s0, 0xffe0
	v_ldexp_f64 v[4:5], v[2:3], s0
	v_floor_f64_e32 v[4:5], v[4:5]
	v_fmac_f64_e32 v[2:3], 0xc1f00000, v[4:5]
	v_cvt_u32_f64_e32 v1, v[2:3]
	v_cvt_i32_f64_e32 v2, v[4:5]
	v_mul_hi_u32 v4, s18, v1
	v_readfirstlane_b32 s5, v2
	v_mul_lo_u32 v2, s18, v2
	v_mul_lo_u32 v3, s19, v1
	v_add_u32_e32 v2, v4, v2
	v_add_u32_e32 v3, v2, v3
	v_mul_lo_u32 v2, s18, v1
	v_lshlrev_b64 v[2:3], 2, v[2:3]
	v_readfirstlane_b32 s4, v1
	v_lshl_add_u64 v[6:7], s[14:15], 0, v[2:3]
	s_lshl_b64 s[0:1], s[18:19], 2
	v_lshl_add_u64 v[4:5], v[6:7], 0, s[0:1]
	s_add_u32 s0, s4, 1
	s_addc_u32 s1, s5, 0
	s_add_u32 s6, s0, s2
	s_mul_hi_u32 s9, s16, s4
	s_mul_i32 s10, s16, s5
	s_addc_u32 s7, s1, 0
	s_mul_i32 s8, s17, s4
	s_add_i32 s9, s9, s10
	s_add_i32 s9, s9, s8
	s_mul_i32 s8, s16, s4
	s_sub_u32 s6, s6, s8
	s_mul_hi_u32 s8, s0, s4
	s_mul_i32 s5, s0, s5
	s_subb_u32 s7, s7, s9
	s_mul_i32 s1, s1, s4
	s_add_i32 s5, s8, s5
	s_add_i32 s5, s5, s1
	s_mul_i32 s0, s0, s4
	s_lshr_b32 s1, s5, 31
	s_add_u32 s0, s0, s1
	s_addc_u32 s1, s5, 0
	s_ashr_i64 s[0:1], s[0:1], 1
	s_add_u32 s0, s6, s0
	s_addc_u32 s1, s7, s1
	s_mul_i32 s1, s18, s1
	s_mul_hi_u32 s5, s18, s0
	s_add_i32 s1, s5, s1
	s_mul_i32 s5, s19, s0
	v_lshlrev_b32_e32 v14, 2, v0
	v_mov_b32_e32 v15, 0
	s_and_b32 s4, s25, 0xffff
	s_add_i32 s1, s1, s5
	s_mul_i32 s0, s18, s0
                                        ; implicit-def: $vgpr1
	v_lshl_add_u64 v[6:7], v[6:7], 0, v[14:15]
	s_lshl_b64 s[16:17], s[0:1], 2
	v_lshl_add_u64 v[8:9], s[14:15], 0, v[14:15]
	s_lshl_b32 s14, s4, 2
	s_mov_b32 s15, s3
	s_mov_b64 s[18:19], 0
	v_mov_b32_e32 v10, s24
	s_mov_b32 s26, 0x3f2aaaab
	v_mov_b32_e32 v11, 0x3e91f4c4
	s_mov_b32 s27, 0x3f317218
	s_movk_i32 s28, 0x204
	s_mov_b32 s29, 0x7f800000
	s_mov_b32 s30, 0x42b17218
	v_mov_b32_e32 v12, 0x37000000
	s_mov_b32 s31, 0x3fb8aa3b
	s_mov_b32 s33, 0xc2ce8ed0
	v_mov_b32_e32 v13, 0x7f800000
	v_mov_b32_e32 v14, 0x7fc00000
	s_lshl_b32 s22, s4, 2
	s_mov_b32 s23, s3
	v_mov_b32_e32 v1, v15
.LBB15_2:                               ; =>This Inner Loop Header: Depth=1
	v_lshl_add_u64 v[18:19], v[8:9], 0, v[2:3]
	v_lshl_add_u64 v[16:17], v[8:9], 0, s[16:17]
	global_load_dword v15, v[18:19], off
	global_load_dword v20, v[16:17], off
	v_lshl_add_u64 v[6:7], v[6:7], 0, s[22:23]
	v_cmp_ge_u64_e32 vcc, v[6:7], v[4:5]
	v_lshl_add_u64 v[8:9], v[8:9], 0, s[14:15]
	s_waitcnt vmcnt(0)
	v_sub_f32_e32 v15, v15, v20
	v_cmp_neq_f32_e64 s[0:1], |v15|, 1.0
	s_nop 1
	v_cndmask_b32_e64 v30, 1.0, v10, s[0:1]
	v_cmp_neq_f32_e64 s[0:1], 0, v30
	v_cmp_gt_f32_e64 s[6:7], 0, v30
	v_cmp_neq_f32_e64 s[34:35], v30, |v30|
	v_cndmask_b32_e64 v15, 1.0, |v15|, s[0:1]
	v_frexp_mant_f32_e32 v18, v15
	v_cmp_gt_f32_e64 s[10:11], s26, v18
	v_cvt_f64_f32_e32 v[16:17], v15
	v_cmp_eq_f32_e64 s[4:5], 0, v15
	v_cndmask_b32_e64 v19, 1.0, 2.0, s[10:11]
	v_mul_f32_e32 v18, v18, v19
	v_add_f32_e32 v19, 1.0, v18
	v_cmp_gt_f32_e64 s[8:9], 1.0, v15
	v_frexp_exp_i32_f64_e32 v16, v[16:17]
	s_xor_b64 s[6:7], s[6:7], s[4:5]
	v_rcp_f32_e32 v21, v19
	s_xor_b64 s[8:9], s[34:35], s[8:9]
	v_cndmask_b32_e64 v31, v13, 0, s[6:7]
	v_subbrev_co_u32_e64 v16, s[6:7], 0, v16, s[10:11]
	v_cndmask_b32_e64 v17, v13, 0, s[8:9]
	v_cmp_neq_f32_e64 s[8:9], 1.0, v15
	v_cvt_f32_i32_e32 v16, v16
	v_add_f32_e32 v20, -1.0, v19
	v_cndmask_b32_e64 v32, 1.0, v17, s[8:9]
	v_add_f32_e32 v17, -1.0, v18
	v_mul_f32_e32 v26, v17, v21
	v_mul_f32_e32 v22, v19, v26
	v_sub_f32_e32 v23, v18, v20
	v_mul_f32_e32 v18, 0x3f317218, v16
	v_fma_f32 v24, v26, v19, -v22
	v_fma_f32 v20, v16, s27, -v18
	v_fmac_f32_e32 v24, v26, v23
	v_fmac_f32_e32 v20, 0xb102e308, v16
	v_add_f32_e32 v16, v22, v24
	v_sub_f32_e32 v23, v17, v16
	v_mov_b32_e32 v25, v16
	v_pk_add_f32 v[16:17], v[16:17], v[22:23] neg_lo:[0,1] neg_hi:[0,1]
	v_cmp_eq_f32_e64 s[0:1], s29, v15
	v_pk_add_f32 v[16:17], v[16:17], v[24:25] neg_lo:[0,1] neg_hi:[0,1]
	s_or_b64 s[0:1], s[4:5], s[0:1]
	v_add_f32_e32 v16, v16, v17
	v_add_f32_e32 v16, v23, v16
	v_mul_f32_e32 v17, v21, v16
	v_add_f32_e32 v16, v26, v17
	v_sub_f32_e32 v19, v16, v26
	v_mul_f32_e32 v23, v16, v16
	v_sub_f32_e32 v19, v17, v19
	v_fma_f32 v17, v16, v16, -v23
	v_add_f32_e32 v22, v19, v19
	v_fmac_f32_e32 v17, v16, v22
	v_add_f32_e32 v22, v23, v17
	v_fmamk_f32 v24, v22, 0x3e76c4e1, v11
	v_sub_f32_e32 v23, v22, v23
	v_fmaak_f32 v24, v22, v24, 0x3ecccdef
	v_sub_f32_e32 v34, v17, v23
	v_mul_f32_e32 v17, v22, v24
	v_fma_f32 v23, v22, v24, -v17
	v_fmac_f32_e32 v23, v34, v24
	v_add_f32_e32 v24, v17, v23
	v_add_f32_e32 v25, 0x3f2aaaaa, v24
	v_sub_f32_e32 v17, v24, v17
	v_sub_f32_e32 v17, v23, v17
	v_add_f32_e32 v23, 0xbf2aaaaa, v25
	v_add_f32_e32 v17, 0x31739010, v17
	v_sub_f32_e32 v23, v24, v23
	v_pk_mul_f32 v[26:27], v[16:17], v[22:23]
	v_pk_add_f32 v[28:29], v[16:17], v[22:23]
	v_fma_f32 v24, v22, v16, -v26
	v_fmac_f32_e32 v24, v22, v19
	v_mov_b32_e32 v27, v29
	v_fmac_f32_e32 v24, v34, v16
	v_ldexp_f32 v21, v16, 1
	v_pk_add_f32 v[16:17], v[26:27], v[24:25]
	v_ldexp_f32 v33, v19, 1
	v_sub_f32_e32 v19, v16, v26
	v_sub_f32_e32 v25, v25, v17
	v_pk_mul_f32 v[22:23], v[16:17], v[16:17] op_sel:[0,1] op_sel_hi:[1,0]
	v_sub_f32_e32 v19, v24, v19
	v_add_f32_e32 v25, v29, v25
	v_fma_f32 v24, v16, v17, -v22
	v_fmac_f32_e32 v24, v16, v25
	v_fmac_f32_e32 v24, v19, v17
	v_add_f32_e32 v19, v22, v24
	v_pk_add_f32 v[16:17], v[18:19], v[20:21]
	v_mov_b32_e32 v23, v21
	v_mov_b32_e32 v26, v19
	;; [unrolled: 1-line block ×4, first 2 shown]
	v_pk_add_f32 v[22:23], v[26:27], v[22:23] neg_lo:[0,1] neg_hi:[0,1]
	v_mov_b32_e32 v21, v16
	v_pk_add_f32 v[22:23], v[24:25], v[22:23] neg_lo:[0,1] neg_hi:[0,1]
	v_mov_b32_e32 v29, v16
	v_add_f32_e32 v19, v33, v22
	v_add_f32_e32 v19, v19, v23
	v_pk_add_f32 v[22:23], v[16:17], v[18:19] neg_lo:[0,1] neg_hi:[0,1]
	v_pk_add_f32 v[24:25], v[16:17], v[18:19]
	v_mov_b32_e32 v28, v19
	v_mov_b32_e32 v23, v25
	v_pk_add_f32 v[26:27], v[20:21], v[22:23] neg_lo:[0,1] neg_hi:[0,1]
	v_pk_add_f32 v[20:21], v[20:21], v[22:23]
	v_mov_b32_e32 v18, v25
	v_pk_add_f32 v[22:23], v[20:21], v[16:17] op_sel:[1,0] op_sel_hi:[0,1] neg_lo:[0,1] neg_hi:[0,1]
	v_mov_b32_e32 v19, v21
	v_pk_mov_b32 v[16:17], v[16:17], v[22:23] op_sel:[1,0]
	v_pk_add_f32 v[24:25], v[24:25], v[22:23] op_sel_hi:[1,0] neg_lo:[0,1] neg_hi:[0,1]
	v_pk_add_f32 v[16:17], v[18:19], v[16:17] neg_lo:[0,1] neg_hi:[0,1]
	v_mov_b32_e32 v24, v26
	v_pk_add_f32 v[16:17], v[28:29], v[16:17] neg_lo:[0,1] neg_hi:[0,1]
	v_mov_b32_e32 v27, v21
	v_pk_add_f32 v[18:19], v[24:25], v[16:17]
	s_or_b64 s[18:19], vcc, s[18:19]
	v_pk_add_f32 v[22:23], v[18:19], v[18:19] op_sel:[0,1] op_sel_hi:[1,0]
	v_cmp_o_f32_e32 vcc, v15, v30
	v_pk_add_f32 v[20:21], v[20:21], v[22:23] op_sel:[1,0] op_sel_hi:[0,1]
	v_mov_b32_e32 v19, v20
	v_mov_b32_e32 v17, v22
	v_pk_add_f32 v[22:23], v[18:19], v[26:27] neg_lo:[0,1] neg_hi:[0,1]
	s_nop 0
	v_sub_f32_e32 v18, v18, v22
	v_pk_add_f32 v[16:17], v[16:17], v[22:23] neg_lo:[0,1] neg_hi:[0,1]
	v_sub_f32_e32 v18, v26, v18
	v_add_f32_e32 v16, v16, v18
	v_add_f32_e32 v16, v16, v17
	;; [unrolled: 1-line block ×3, first 2 shown]
	v_sub_f32_e32 v18, v17, v20
	v_mul_f32_e32 v19, v30, v17
	v_sub_f32_e32 v16, v16, v18
	v_fma_f32 v17, v30, v17, -v19
	v_fmac_f32_e32 v17, v30, v16
	v_add_f32_e32 v16, v19, v17
	v_cmp_class_f32_e64 s[6:7], v19, s28
	v_sub_f32_e32 v18, v16, v19
	v_sub_f32_e32 v17, v17, v18
	v_cndmask_b32_e64 v16, v16, v19, s[6:7]
	v_cmp_eq_f32_e64 s[6:7], s30, v16
	s_nop 1
	v_cndmask_b32_e64 v18, 0, v12, s[6:7]
	v_cmp_neq_f32_e64 s[6:7], |v16|, s29
	v_sub_f32_e32 v16, v16, v18
	s_nop 0
	v_cndmask_b32_e64 v17, 0, v17, s[6:7]
	v_add_f32_e32 v17, v18, v17
	v_mul_f32_e32 v18, 0x3fb8aa3b, v16
	v_fma_f32 v19, v16, s31, -v18
	v_rndne_f32_e32 v20, v18
	v_fmac_f32_e32 v19, 0x32a5705f, v16
	v_sub_f32_e32 v18, v18, v20
	v_add_f32_e32 v18, v18, v19
	v_cvt_i32_f32_e32 v20, v20
	v_exp_f32_e32 v18, v18
	v_cmp_ngt_f32_e64 s[6:7], s33, v16
	v_ldexp_f32 v18, v18, v20
	s_nop 0
	v_cndmask_b32_e64 v18, 0, v18, s[6:7]
	v_cmp_nlt_f32_e64 s[6:7], s30, v16
	s_nop 1
	v_cndmask_b32_e64 v16, v13, v18, s[6:7]
	v_fma_f32 v17, v16, v17, v16
	v_cmp_class_f32_e64 s[6:7], v16, s28
	s_nop 1
	v_cndmask_b32_e64 v16, v17, v16, s[6:7]
	v_cmp_class_f32_e64 s[6:7], v30, s28
	s_nop 1
	v_cndmask_b32_e64 v16, |v16|, v32, s[6:7]
	v_cndmask_b32_e64 v16, v16, v31, s[0:1]
	v_cndmask_b32_e32 v15, v14, v16, vcc
	v_add_f32_e32 v1, v1, v15
	s_andn2_b64 exec, exec, s[18:19]
	s_cbranch_execnz .LBB15_2
; %bb.3:
	s_or_b64 exec, exec, s[18:19]
.LBB15_4:
	s_or_b64 exec, exec, s[20:21]
	v_mbcnt_lo_u32_b32 v2, -1, 0
	v_mbcnt_hi_u32_b32 v6, -1, v2
	v_mov_b32_e32 v2, 0x80
	v_lshl_or_b32 v2, v6, 2, v2
	ds_bpermute_b32 v3, v2, v1
	v_and_b32_e32 v7, 63, v6
	v_cmp_gt_u32_e32 vcc, 48, v7
	s_waitcnt lgkmcnt(0)
	s_barrier
	v_cndmask_b32_e64 v4, 0, 16, vcc
	v_add_f32_e32 v5, v1, v3
	v_add_lshl_u32 v1, v4, v6, 2
	ds_bpermute_b32 v4, v1, v5
	v_cmp_gt_u32_e32 vcc, 56, v7
	s_waitcnt lgkmcnt(0)
	v_add_f32_e32 v5, v5, v4
	v_cndmask_b32_e64 v3, 0, 8, vcc
	v_add_lshl_u32 v3, v3, v6, 2
	ds_bpermute_b32 v8, v3, v5
	v_cmp_gt_u32_e32 vcc, 60, v7
	s_waitcnt lgkmcnt(0)
	v_add_f32_e32 v8, v5, v8
	v_cndmask_b32_e64 v4, 0, 4, vcc
	;; [unrolled: 6-line block ×3, first 2 shown]
	v_add_lshl_u32 v5, v5, v6, 2
	ds_bpermute_b32 v10, v5, v9
	v_cmp_ne_u32_e32 vcc, 63, v7
	v_and_b32_e32 v8, 63, v0
	s_waitcnt lgkmcnt(0)
	v_add_f32_e32 v7, v9, v10
	v_addc_co_u32_e32 v6, vcc, 0, v6, vcc
	v_lshlrev_b32_e32 v6, 2, v6
	ds_bpermute_b32 v9, v6, v7
	v_cmp_eq_u32_e32 vcc, 0, v8
	s_and_saveexec_b64 s[0:1], vcc
	s_cbranch_execz .LBB15_6
; %bb.5:
	s_waitcnt lgkmcnt(0)
	v_add_f32_e32 v7, v7, v9
	v_lshrrev_b32_e32 v9, 4, v0
	ds_write_b32 v9, v7
.LBB15_6:
	s_or_b64 exec, exec, s[0:1]
	s_and_b32 s0, 0xffff, s25
	s_lshr_b32 s0, s0, 6
	v_cmp_gt_u32_e32 vcc, s0, v0
	v_mov_b32_e32 v7, 0
	s_waitcnt lgkmcnt(0)
	s_barrier
	s_and_saveexec_b64 s[0:1], vcc
	s_cbranch_execnz .LBB15_10
; %bb.7:
	s_or_b64 exec, exec, s[0:1]
	v_cmp_gt_u32_e32 vcc, 64, v0
	s_and_saveexec_b64 s[0:1], vcc
	s_cbranch_execnz .LBB15_11
.LBB15_8:
	s_or_b64 exec, exec, s[0:1]
	v_cmp_eq_u32_e32 vcc, 0, v0
	s_and_saveexec_b64 s[0:1], vcc
	s_cbranch_execnz .LBB15_12
.LBB15_9:
	s_endpgm
.LBB15_10:
	v_lshlrev_b32_e32 v7, 2, v8
	ds_read_b32 v7, v7
	s_or_b64 exec, exec, s[0:1]
	v_cmp_gt_u32_e32 vcc, 64, v0
	s_and_saveexec_b64 s[0:1], vcc
	s_cbranch_execz .LBB15_8
.LBB15_11:
	s_waitcnt lgkmcnt(0)
	ds_bpermute_b32 v2, v2, v7
	s_waitcnt lgkmcnt(0)
	v_add_f32_e32 v2, v7, v2
	ds_bpermute_b32 v1, v1, v2
	s_waitcnt lgkmcnt(0)
	v_add_f32_e32 v1, v2, v1
	;; [unrolled: 3-line block ×6, first 2 shown]
	s_or_b64 exec, exec, s[0:1]
	v_cmp_eq_u32_e32 vcc, 0, v0
	s_and_saveexec_b64 s[0:1], vcc
	s_cbranch_execz .LBB15_9
.LBB15_12:
	v_div_scale_f32 v0, s[0:1], s24, s24, 1.0
	v_rcp_f32_e32 v1, v0
	v_div_scale_f32 v2, vcc, 1.0, s24, 1.0
	s_mov_b32 s0, 0x3f2aaaab
	v_fma_f32 v3, -v0, v1, 1.0
	v_fmac_f32_e32 v1, v3, v1
	v_mul_f32_e32 v3, v2, v1
	v_fma_f32 v4, -v0, v3, v2
	v_fmac_f32_e32 v3, v4, v1
	v_fma_f32 v0, -v0, v3, v2
	v_div_fmas_f32 v0, v0, v1, v3
	v_div_fixup_f32 v0, v0, s24, 1.0
	s_waitcnt lgkmcnt(0)
	v_cmp_neq_f32_e32 vcc, 1.0, v7
	s_movk_i32 s8, 0x204
	s_mov_b32 s1, 0x42b17218
	v_cndmask_b32_e32 v14, 1.0, v0, vcc
	v_cmp_neq_f32_e32 vcc, 0, v14
	s_mov_b32 s4, 0x3fb8aa3b
	s_brev_b32 s9, -2
	v_cndmask_b32_e32 v15, 1.0, v7, vcc
	v_frexp_mant_f32_e64 v0, |v15|
	v_cmp_gt_f32_e32 vcc, s0, v0
	s_mov_b32 s0, 0x3f317218
	v_cmp_lt_f32_e64 s[6:7], |v15|, 1.0
	v_cndmask_b32_e64 v1, 1.0, 2.0, vcc
	v_mul_f32_e32 v0, v0, v1
	v_add_f32_e32 v3, 1.0, v0
	v_rcp_f32_e32 v8, v3
	v_add_f32_e32 v1, -1.0, v3
	v_sub_f32_e32 v5, v0, v1
	v_add_f32_e32 v1, -1.0, v0
	v_mul_f32_e32 v9, v1, v8
	v_mul_f32_e32 v2, v3, v9
	v_fma_f32 v4, v9, v3, -v2
	v_fmac_f32_e32 v4, v9, v5
	v_add_f32_e32 v0, v2, v4
	v_sub_f32_e32 v3, v1, v0
	v_pk_add_f32 v[6:7], v[0:1], v[2:3] neg_lo:[0,1] neg_hi:[0,1]
	v_mov_b32_e32 v5, v0
	v_pk_add_f32 v[0:1], v[6:7], v[4:5] neg_lo:[0,1] neg_hi:[0,1]
	v_mov_b32_e32 v4, 0x3e91f4c4
	v_add_f32_e32 v0, v0, v1
	v_add_f32_e32 v0, v3, v0
	v_mul_f32_e32 v1, v8, v0
	v_add_f32_e32 v0, v9, v1
	v_sub_f32_e32 v2, v0, v9
	v_sub_f32_e32 v10, v1, v2
	v_mul_f32_e32 v1, v0, v0
	v_fma_f32 v3, v0, v0, -v1
	v_add_f32_e32 v2, v10, v10
	v_fmac_f32_e32 v3, v0, v2
	v_add_f32_e32 v2, v1, v3
	v_fmac_f32_e32 v4, 0x3e76c4e1, v2
	v_fmaak_f32 v4, v2, v4, 0x3ecccdef
	v_sub_f32_e32 v1, v2, v1
	v_sub_f32_e32 v11, v3, v1
	v_mul_f32_e32 v1, v2, v4
	v_fma_f32 v3, v2, v4, -v1
	v_fmac_f32_e32 v3, v11, v4
	v_add_f32_e32 v4, v1, v3
	v_add_f32_e32 v5, 0x3f2aaaaa, v4
	v_sub_f32_e32 v1, v4, v1
	v_sub_f32_e32 v1, v3, v1
	v_add_f32_e32 v3, 0xbf2aaaaa, v5
	v_add_f32_e32 v1, 0x31739010, v1
	v_sub_f32_e32 v3, v4, v3
	v_pk_mul_f32 v[6:7], v[0:1], v[2:3]
	v_pk_add_f32 v[8:9], v[0:1], v[2:3]
	v_fma_f32 v4, v2, v0, -v6
	v_fmac_f32_e32 v4, v2, v10
	v_mov_b32_e32 v7, v9
	v_fmac_f32_e32 v4, v11, v0
	v_pk_add_f32 v[2:3], v[6:7], v[4:5]
	v_ldexp_f32 v12, v10, 1
	v_sub_f32_e32 v1, v2, v6
	v_sub_f32_e32 v1, v4, v1
	;; [unrolled: 1-line block ×3, first 2 shown]
	v_add_f32_e32 v7, v9, v4
	v_pk_mul_f32 v[4:5], v[2:3], v[2:3] op_sel:[0,1] op_sel_hi:[1,0]
	v_cvt_f64_f32_e64 v[8:9], |v15|
	v_frexp_exp_i32_f64_e32 v5, v[8:9]
	v_subbrev_co_u32_e32 v5, vcc, 0, v5, vcc
	v_cvt_f32_i32_e32 v5, v5
	v_fma_f32 v6, v2, v3, -v4
	v_fmac_f32_e32 v6, v2, v7
	v_fmac_f32_e32 v6, v1, v3
	v_mul_f32_e32 v2, 0x3f317218, v5
	v_fma_f32 v1, v5, s0, -v2
	v_fmamk_f32 v8, v5, 0xb102e308, v1
	v_ldexp_f32 v9, v0, 1
	v_add_f32_e32 v3, v4, v6
	v_pk_add_f32 v[0:1], v[2:3], v[8:9]
	v_mov_b32_e32 v10, v3
	v_mov_b32_e32 v11, v1
	;; [unrolled: 1-line block ×3, first 2 shown]
	v_pk_add_f32 v[4:5], v[10:11], v[4:5] neg_lo:[0,1] neg_hi:[0,1]
	v_mov_b32_e32 v7, v3
	v_pk_add_f32 v[4:5], v[6:7], v[4:5] neg_lo:[0,1] neg_hi:[0,1]
	v_mov_b32_e32 v9, v0
	v_add_f32_e32 v3, v12, v4
	v_add_f32_e32 v3, v3, v5
	v_pk_add_f32 v[4:5], v[0:1], v[2:3] neg_lo:[0,1] neg_hi:[0,1]
	v_pk_add_f32 v[6:7], v[0:1], v[2:3]
	v_mov_b32_e32 v2, v3
	v_mov_b32_e32 v5, v7
	v_pk_add_f32 v[10:11], v[8:9], v[4:5] neg_lo:[0,1] neg_hi:[0,1]
	v_pk_add_f32 v[4:5], v[8:9], v[4:5]
	v_mov_b32_e32 v3, v0
	v_pk_add_f32 v[8:9], v[4:5], v[0:1] op_sel:[1,0] op_sel_hi:[0,1] neg_lo:[0,1] neg_hi:[0,1]
	v_pk_add_f32 v[12:13], v[6:7], v[8:9] op_sel_hi:[1,0] neg_lo:[0,1] neg_hi:[0,1]
	v_mov_b32_e32 v6, v7
	v_mov_b32_e32 v7, v5
	v_pk_mov_b32 v[8:9], v[0:1], v[8:9] op_sel:[1,0]
	v_mov_b32_e32 v12, v10
	v_pk_add_f32 v[6:7], v[6:7], v[8:9] neg_lo:[0,1] neg_hi:[0,1]
	v_mov_b32_e32 v11, v5
	v_pk_add_f32 v[0:1], v[2:3], v[6:7] neg_lo:[0,1] neg_hi:[0,1]
	s_mov_b32 s0, 0x7f800000
	v_pk_add_f32 v[2:3], v[12:13], v[0:1]
	s_nop 0
	v_pk_add_f32 v[6:7], v[2:3], v[2:3] op_sel:[0,1] op_sel_hi:[1,0]
	s_nop 0
	v_pk_add_f32 v[4:5], v[4:5], v[6:7] op_sel:[1,0] op_sel_hi:[0,1]
	v_mov_b32_e32 v3, v4
	v_pk_add_f32 v[8:9], v[2:3], v[10:11] neg_lo:[0,1] neg_hi:[0,1]
	v_mov_b32_e32 v1, v6
	v_sub_f32_e32 v2, v2, v8
	v_pk_add_f32 v[0:1], v[0:1], v[8:9] neg_lo:[0,1] neg_hi:[0,1]
	v_sub_f32_e32 v2, v10, v2
	v_add_f32_e32 v0, v0, v2
	v_add_f32_e32 v0, v0, v1
	;; [unrolled: 1-line block ×3, first 2 shown]
	v_sub_f32_e32 v2, v1, v4
	v_sub_f32_e32 v0, v0, v2
	v_mul_f32_e32 v2, v14, v1
	v_fma_f32 v1, v14, v1, -v2
	v_fmac_f32_e32 v1, v14, v0
	v_add_f32_e32 v0, v2, v1
	v_cmp_class_f32_e64 vcc, v2, s8
	v_sub_f32_e32 v3, v0, v2
	v_sub_f32_e32 v1, v1, v3
	v_cndmask_b32_e32 v0, v0, v2, vcc
	v_mov_b32_e32 v2, 0x37000000
	v_cmp_eq_f32_e32 vcc, s1, v0
	s_nop 1
	v_cndmask_b32_e32 v2, 0, v2, vcc
	v_sub_f32_e32 v3, v0, v2
	v_mul_f32_e32 v4, 0x3fb8aa3b, v3
	v_fma_f32 v5, v3, s4, -v4
	v_rndne_f32_e32 v6, v4
	v_fmamk_f32 v5, v3, 0x32a5705f, v5
	v_sub_f32_e32 v4, v4, v6
	v_add_f32_e32 v4, v4, v5
	v_exp_f32_e32 v4, v4
	v_cvt_i32_f32_e32 v5, v6
	v_cmp_neq_f32_e64 vcc, |v0|, s0
	s_mov_b32 s0, 0xc2ce8ed0
	v_cmp_neq_f32_e64 s[4:5], v14, |v14|
	v_cndmask_b32_e32 v0, 0, v1, vcc
	v_ldexp_f32 v1, v4, v5
	v_cmp_ngt_f32_e32 vcc, s0, v3
	v_add_f32_e32 v0, v2, v0
	v_mov_b32_e32 v2, 0x7f800000
	v_cndmask_b32_e32 v1, 0, v1, vcc
	v_cmp_nlt_f32_e32 vcc, s1, v3
	v_mov_b32_e32 v3, 0x7fc00000
	s_xor_b64 s[4:5], s[4:5], s[6:7]
	v_cndmask_b32_e32 v1, v2, v1, vcc
	v_fma_f32 v0, v1, v0, v1
	v_cmp_class_f32_e64 vcc, v1, s8
	v_cmp_class_f32_e64 s[6:7], v15, s8
	s_nop 0
	v_cndmask_b32_e32 v0, v0, v1, vcc
	v_trunc_f32_e32 v1, v14
	v_cmp_eq_f32_e32 vcc, v1, v14
	v_mul_f32_e32 v1, 0.5, v14
	v_trunc_f32_e32 v4, v1
	v_cmp_neq_f32_e64 s[0:1], v4, v1
	s_and_b64 s[0:1], vcc, s[0:1]
	s_nop 0
	v_cndmask_b32_e64 v1, 1.0, v15, s[0:1]
	v_bfi_b32 v0, s9, v0, v1
	v_cndmask_b32_e32 v1, v3, v0, vcc
	v_cmp_gt_f32_e32 vcc, 0, v15
	s_nop 1
	v_cndmask_b32_e32 v0, v0, v1, vcc
	v_cndmask_b32_e64 v1, v2, 0, s[4:5]
	v_cmp_neq_f32_e64 vcc, |v15|, 1.0
	v_cmp_gt_f32_e64 s[4:5], 0, v14
	s_nop 0
	v_cndmask_b32_e32 v1, 1.0, v1, vcc
	v_cmp_class_f32_e64 vcc, v14, s8
	s_nop 1
	v_cndmask_b32_e32 v0, v0, v1, vcc
	v_cmp_eq_f32_e32 vcc, 0, v15
	s_xor_b64 s[4:5], s[4:5], vcc
	v_cndmask_b32_e64 v1, v2, 0, s[4:5]
	v_cndmask_b32_e64 v2, 0, v15, s[0:1]
	v_bfi_b32 v1, s9, v1, v2
	s_or_b64 vcc, vcc, s[6:7]
	s_lshl_b64 s[0:1], s[2:3], 2
	v_cndmask_b32_e32 v0, v0, v1, vcc
	v_cmp_o_f32_e32 vcc, v15, v14
	s_add_u32 s0, s12, s0
	s_addc_u32 s1, s13, s1
	v_cndmask_b32_e32 v0, v3, v0, vcc
	v_mov_b32_e32 v1, 0
	global_store_dword v1, v0, s[0:1]
	s_endpgm
	.section	.rodata,"a",@progbits
	.p2align	6, 0x0
	.amdhsa_kernel _ZN2at6native12_GLOBAL__N_122pdist_kernel_cuda_implIfNS1_5distsIfE1pEEEvPT_PKS6_llS6_dd
		.amdhsa_group_segment_fixed_size 1024
		.amdhsa_private_segment_fixed_size 0
		.amdhsa_kernarg_size 312
		.amdhsa_user_sgpr_count 2
		.amdhsa_user_sgpr_dispatch_ptr 0
		.amdhsa_user_sgpr_queue_ptr 0
		.amdhsa_user_sgpr_kernarg_segment_ptr 1
		.amdhsa_user_sgpr_dispatch_id 0
		.amdhsa_user_sgpr_kernarg_preload_length 0
		.amdhsa_user_sgpr_kernarg_preload_offset 0
		.amdhsa_user_sgpr_private_segment_size 0
		.amdhsa_uses_dynamic_stack 0
		.amdhsa_enable_private_segment 0
		.amdhsa_system_sgpr_workgroup_id_x 1
		.amdhsa_system_sgpr_workgroup_id_y 0
		.amdhsa_system_sgpr_workgroup_id_z 0
		.amdhsa_system_sgpr_workgroup_info 0
		.amdhsa_system_vgpr_workitem_id 0
		.amdhsa_next_free_vgpr 35
		.amdhsa_next_free_sgpr 36
		.amdhsa_accum_offset 36
		.amdhsa_reserve_vcc 1
		.amdhsa_float_round_mode_32 0
		.amdhsa_float_round_mode_16_64 0
		.amdhsa_float_denorm_mode_32 3
		.amdhsa_float_denorm_mode_16_64 3
		.amdhsa_dx10_clamp 1
		.amdhsa_ieee_mode 1
		.amdhsa_fp16_overflow 0
		.amdhsa_tg_split 0
		.amdhsa_exception_fp_ieee_invalid_op 0
		.amdhsa_exception_fp_denorm_src 0
		.amdhsa_exception_fp_ieee_div_zero 0
		.amdhsa_exception_fp_ieee_overflow 0
		.amdhsa_exception_fp_ieee_underflow 0
		.amdhsa_exception_fp_ieee_inexact 0
		.amdhsa_exception_int_div_zero 0
	.end_amdhsa_kernel
	.section	.text._ZN2at6native12_GLOBAL__N_122pdist_kernel_cuda_implIfNS1_5distsIfE1pEEEvPT_PKS6_llS6_dd,"axG",@progbits,_ZN2at6native12_GLOBAL__N_122pdist_kernel_cuda_implIfNS1_5distsIfE1pEEEvPT_PKS6_llS6_dd,comdat
.Lfunc_end15:
	.size	_ZN2at6native12_GLOBAL__N_122pdist_kernel_cuda_implIfNS1_5distsIfE1pEEEvPT_PKS6_llS6_dd, .Lfunc_end15-_ZN2at6native12_GLOBAL__N_122pdist_kernel_cuda_implIfNS1_5distsIfE1pEEEvPT_PKS6_llS6_dd
                                        ; -- End function
	.set _ZN2at6native12_GLOBAL__N_122pdist_kernel_cuda_implIfNS1_5distsIfE1pEEEvPT_PKS6_llS6_dd.num_vgpr, 35
	.set _ZN2at6native12_GLOBAL__N_122pdist_kernel_cuda_implIfNS1_5distsIfE1pEEEvPT_PKS6_llS6_dd.num_agpr, 0
	.set _ZN2at6native12_GLOBAL__N_122pdist_kernel_cuda_implIfNS1_5distsIfE1pEEEvPT_PKS6_llS6_dd.numbered_sgpr, 36
	.set _ZN2at6native12_GLOBAL__N_122pdist_kernel_cuda_implIfNS1_5distsIfE1pEEEvPT_PKS6_llS6_dd.num_named_barrier, 0
	.set _ZN2at6native12_GLOBAL__N_122pdist_kernel_cuda_implIfNS1_5distsIfE1pEEEvPT_PKS6_llS6_dd.private_seg_size, 0
	.set _ZN2at6native12_GLOBAL__N_122pdist_kernel_cuda_implIfNS1_5distsIfE1pEEEvPT_PKS6_llS6_dd.uses_vcc, 1
	.set _ZN2at6native12_GLOBAL__N_122pdist_kernel_cuda_implIfNS1_5distsIfE1pEEEvPT_PKS6_llS6_dd.uses_flat_scratch, 0
	.set _ZN2at6native12_GLOBAL__N_122pdist_kernel_cuda_implIfNS1_5distsIfE1pEEEvPT_PKS6_llS6_dd.has_dyn_sized_stack, 0
	.set _ZN2at6native12_GLOBAL__N_122pdist_kernel_cuda_implIfNS1_5distsIfE1pEEEvPT_PKS6_llS6_dd.has_recursion, 0
	.set _ZN2at6native12_GLOBAL__N_122pdist_kernel_cuda_implIfNS1_5distsIfE1pEEEvPT_PKS6_llS6_dd.has_indirect_call, 0
	.section	.AMDGPU.csdata,"",@progbits
; Kernel info:
; codeLenInByte = 3304
; TotalNumSgprs: 42
; NumVgprs: 35
; NumAgprs: 0
; TotalNumVgprs: 35
; ScratchSize: 0
; MemoryBound: 0
; FloatMode: 240
; IeeeMode: 1
; LDSByteSize: 1024 bytes/workgroup (compile time only)
; SGPRBlocks: 5
; VGPRBlocks: 4
; NumSGPRsForWavesPerEU: 42
; NumVGPRsForWavesPerEU: 35
; AccumOffset: 36
; Occupancy: 8
; WaveLimiterHint : 0
; COMPUTE_PGM_RSRC2:SCRATCH_EN: 0
; COMPUTE_PGM_RSRC2:USER_SGPR: 2
; COMPUTE_PGM_RSRC2:TRAP_HANDLER: 0
; COMPUTE_PGM_RSRC2:TGID_X_EN: 1
; COMPUTE_PGM_RSRC2:TGID_Y_EN: 0
; COMPUTE_PGM_RSRC2:TGID_Z_EN: 0
; COMPUTE_PGM_RSRC2:TIDIG_COMP_CNT: 0
; COMPUTE_PGM_RSRC3_GFX90A:ACCUM_OFFSET: 8
; COMPUTE_PGM_RSRC3_GFX90A:TG_SPLIT: 0
	.section	.text._ZN2at6native12_GLOBAL__N_122pdist_kernel_cuda_implIfNS1_5distsIfE4zeroEEEvPT_PKS6_llS6_dd,"axG",@progbits,_ZN2at6native12_GLOBAL__N_122pdist_kernel_cuda_implIfNS1_5distsIfE4zeroEEEvPT_PKS6_llS6_dd,comdat
	.globl	_ZN2at6native12_GLOBAL__N_122pdist_kernel_cuda_implIfNS1_5distsIfE4zeroEEEvPT_PKS6_llS6_dd ; -- Begin function _ZN2at6native12_GLOBAL__N_122pdist_kernel_cuda_implIfNS1_5distsIfE4zeroEEEvPT_PKS6_llS6_dd
	.p2align	8
	.type	_ZN2at6native12_GLOBAL__N_122pdist_kernel_cuda_implIfNS1_5distsIfE4zeroEEEvPT_PKS6_llS6_dd,@function
_ZN2at6native12_GLOBAL__N_122pdist_kernel_cuda_implIfNS1_5distsIfE4zeroEEEvPT_PKS6_llS6_dd: ; @_ZN2at6native12_GLOBAL__N_122pdist_kernel_cuda_implIfNS1_5distsIfE4zeroEEEvPT_PKS6_llS6_dd
; %bb.0:
	s_load_dwordx8 s[4:11], s[0:1], 0x0
	s_load_dword s18, s[0:1], 0x44
	v_mov_b32_e32 v1, 0
	s_mov_b32 s3, 0
	s_waitcnt lgkmcnt(0)
	v_cmp_gt_i64_e32 vcc, s[10:11], v[0:1]
	s_and_saveexec_b64 s[12:13], vcc
	s_cbranch_execz .LBB16_8
; %bb.1:
	s_load_dwordx4 s[20:23], s[0:1], 0x28
	s_lshl_b64 s[0:1], s[2:3], 1
	v_cvt_f64_u32_e32 v[2:3], s1
	v_ldexp_f64 v[2:3], v[2:3], 32
	v_cvt_f64_u32_e32 v[4:5], s0
	v_add_f64 v[2:3], v[2:3], v[4:5]
	s_mov_b32 s0, 0
	s_waitcnt lgkmcnt(0)
	v_add_f64 v[2:3], s[22:23], -v[2:3]
	s_brev_b32 s1, 8
	v_cmp_gt_f64_e32 vcc, s[0:1], v[2:3]
	s_and_b64 s[0:1], vcc, exec
	s_cselect_b32 s0, 0x100, 0
	v_ldexp_f64 v[2:3], v[2:3], s0
	v_rsq_f64_e32 v[4:5], v[2:3]
	s_cselect_b32 s0, 0xffffff80, 0
	v_mov_b32_e32 v1, 0x260
	v_cmp_class_f64_e32 vcc, v[2:3], v1
	v_mul_f64 v[6:7], v[2:3], v[4:5]
	v_mul_f64 v[4:5], v[4:5], 0.5
	v_fma_f64 v[8:9], -v[4:5], v[6:7], 0.5
	v_fmac_f64_e32 v[6:7], v[6:7], v[8:9]
	v_fma_f64 v[10:11], -v[6:7], v[6:7], v[2:3]
	v_fmac_f64_e32 v[4:5], v[4:5], v[8:9]
	v_fmac_f64_e32 v[6:7], v[10:11], v[4:5]
	v_fma_f64 v[8:9], -v[6:7], v[6:7], v[2:3]
	v_fmac_f64_e32 v[6:7], v[8:9], v[4:5]
	v_ldexp_f64 v[4:5], v[6:7], s0
	v_cndmask_b32_e32 v3, v5, v3, vcc
	v_cndmask_b32_e32 v2, v4, v2, vcc
	v_add_f64 v[2:3], s[20:21], -v[2:3]
	v_trunc_f64_e32 v[2:3], v[2:3]
	s_movk_i32 s0, 0xffe0
	v_ldexp_f64 v[4:5], v[2:3], s0
	v_floor_f64_e32 v[4:5], v[4:5]
	v_fmac_f64_e32 v[2:3], 0xc1f00000, v[4:5]
	v_cvt_u32_f64_e32 v1, v[2:3]
	v_cvt_i32_f64_e32 v2, v[4:5]
	v_mul_hi_u32 v4, s10, v1
	v_readfirstlane_b32 s15, v2
	v_mul_lo_u32 v2, s10, v2
	v_mul_lo_u32 v3, s11, v1
	v_add_u32_e32 v2, v4, v2
	v_add_u32_e32 v3, v2, v3
	v_mul_lo_u32 v2, s10, v1
	v_lshlrev_b64 v[2:3], 2, v[2:3]
	v_readfirstlane_b32 s14, v1
	v_lshl_add_u64 v[6:7], s[6:7], 0, v[2:3]
	s_lshl_b64 s[0:1], s[10:11], 2
	v_lshl_add_u64 v[4:5], v[6:7], 0, s[0:1]
	s_add_u32 s0, s14, 1
	s_addc_u32 s1, s15, 0
	s_add_u32 s16, s0, s2
	s_mul_hi_u32 s19, s8, s14
	s_mul_i32 s20, s8, s15
	s_addc_u32 s17, s1, 0
	s_mul_i32 s9, s9, s14
	s_add_i32 s19, s19, s20
	s_add_i32 s19, s19, s9
	s_mul_i32 s8, s8, s14
	s_sub_u32 s8, s16, s8
	s_mul_hi_u32 s16, s0, s14
	s_mul_i32 s15, s0, s15
	s_subb_u32 s9, s17, s19
	s_mul_i32 s1, s1, s14
	s_add_i32 s15, s16, s15
	s_add_i32 s15, s15, s1
	s_mul_i32 s0, s0, s14
	s_lshr_b32 s1, s15, 31
	s_add_u32 s0, s0, s1
	s_addc_u32 s1, s15, 0
	s_ashr_i64 s[0:1], s[0:1], 1
	s_add_u32 s0, s8, s0
	s_addc_u32 s1, s9, s1
	s_mul_i32 s1, s10, s1
	s_mul_hi_u32 s8, s10, s0
	s_add_i32 s1, s8, s1
	s_mul_i32 s8, s11, s0
	v_lshlrev_b32_e32 v8, 2, v0
	v_mov_b32_e32 v9, 0
	s_and_b32 s14, s18, 0xffff
	s_add_i32 s1, s1, s8
	s_mul_i32 s0, s10, s0
	v_lshl_add_u64 v[6:7], v[6:7], 0, v[8:9]
	s_lshl_b64 s[0:1], s[0:1], 2
	v_lshl_add_u64 v[10:11], s[6:7], 0, v[8:9]
	s_lshl_b32 s6, s14, 2
	s_mov_b32 s7, s3
	s_mov_b64 s[8:9], 0
	s_lshl_b32 s10, s14, 2
	s_mov_b32 s11, s3
	s_branch .LBB16_4
.LBB16_2:                               ;   in Loop: Header=BB16_4 Depth=1
	s_or_b64 exec, exec, s[16:17]
	v_mov_b32_e32 v1, v9
.LBB16_3:                               ;   in Loop: Header=BB16_4 Depth=1
	s_or_b64 exec, exec, s[14:15]
	v_lshl_add_u64 v[6:7], v[6:7], 0, s[10:11]
	v_cmp_ge_u64_e32 vcc, v[6:7], v[4:5]
	v_lshl_add_u64 v[10:11], v[10:11], 0, s[6:7]
	s_or_b64 s[8:9], vcc, s[8:9]
	v_mov_b32_e32 v9, v1
	s_andn2_b64 exec, exec, s[8:9]
	s_cbranch_execz .LBB16_7
.LBB16_4:                               ; =>This Inner Loop Header: Depth=1
	v_lshl_add_u64 v[14:15], v[10:11], 0, v[2:3]
	v_lshl_add_u64 v[12:13], v[10:11], 0, s[0:1]
	global_load_dword v1, v[14:15], off
	global_load_dword v8, v[12:13], off
	s_waitcnt vmcnt(0)
	v_sub_f32_e32 v8, v1, v8
	v_and_b32_e32 v1, 0x7fffffff, v8
	v_cmp_o_f32_e32 vcc, v8, v8
	s_and_saveexec_b64 s[14:15], vcc
	s_cbranch_execz .LBB16_3
; %bb.5:                                ;   in Loop: Header=BB16_4 Depth=1
	v_cmp_neq_f32_e32 vcc, 0, v8
	s_and_saveexec_b64 s[16:17], vcc
	s_cbranch_execz .LBB16_2
; %bb.6:                                ;   in Loop: Header=BB16_4 Depth=1
	v_add_f32_e32 v9, 1.0, v9
	s_branch .LBB16_2
.LBB16_7:
	s_or_b64 exec, exec, s[8:9]
.LBB16_8:
	s_or_b64 exec, exec, s[12:13]
	v_mbcnt_lo_u32_b32 v2, -1, 0
	v_mbcnt_hi_u32_b32 v6, -1, v2
	v_mov_b32_e32 v2, 0x80
	v_lshl_or_b32 v2, v6, 2, v2
	ds_bpermute_b32 v3, v2, v1
	v_and_b32_e32 v7, 63, v6
	v_cmp_gt_u32_e32 vcc, 48, v7
	s_waitcnt lgkmcnt(0)
	s_barrier
	v_cndmask_b32_e64 v4, 0, 16, vcc
	v_add_f32_e32 v5, v1, v3
	v_add_lshl_u32 v1, v4, v6, 2
	ds_bpermute_b32 v4, v1, v5
	v_cmp_gt_u32_e32 vcc, 56, v7
	s_waitcnt lgkmcnt(0)
	v_add_f32_e32 v5, v5, v4
	v_cndmask_b32_e64 v3, 0, 8, vcc
	v_add_lshl_u32 v3, v3, v6, 2
	ds_bpermute_b32 v8, v3, v5
	v_cmp_gt_u32_e32 vcc, 60, v7
	s_waitcnt lgkmcnt(0)
	v_add_f32_e32 v8, v5, v8
	v_cndmask_b32_e64 v4, 0, 4, vcc
	;; [unrolled: 6-line block ×3, first 2 shown]
	v_add_lshl_u32 v5, v5, v6, 2
	ds_bpermute_b32 v10, v5, v9
	v_cmp_ne_u32_e32 vcc, 63, v7
	v_and_b32_e32 v8, 63, v0
	s_waitcnt lgkmcnt(0)
	v_add_f32_e32 v7, v9, v10
	v_addc_co_u32_e32 v6, vcc, 0, v6, vcc
	v_lshlrev_b32_e32 v6, 2, v6
	ds_bpermute_b32 v9, v6, v7
	v_cmp_eq_u32_e32 vcc, 0, v8
	s_and_saveexec_b64 s[0:1], vcc
	s_cbranch_execz .LBB16_10
; %bb.9:
	s_waitcnt lgkmcnt(0)
	v_add_f32_e32 v7, v7, v9
	v_lshrrev_b32_e32 v9, 4, v0
	ds_write_b32 v9, v7
.LBB16_10:
	s_or_b64 exec, exec, s[0:1]
	s_and_b32 s0, 0xffff, s18
	s_lshr_b32 s0, s0, 6
	v_cmp_gt_u32_e32 vcc, s0, v0
	v_mov_b32_e32 v7, 0
	s_waitcnt lgkmcnt(0)
	s_barrier
	s_and_saveexec_b64 s[0:1], vcc
	s_cbranch_execnz .LBB16_14
; %bb.11:
	s_or_b64 exec, exec, s[0:1]
	v_cmp_gt_u32_e32 vcc, 64, v0
	s_and_saveexec_b64 s[0:1], vcc
	s_cbranch_execnz .LBB16_15
.LBB16_12:
	s_or_b64 exec, exec, s[0:1]
	v_cmp_eq_u32_e32 vcc, 0, v0
	s_and_saveexec_b64 s[0:1], vcc
	s_cbranch_execnz .LBB16_16
.LBB16_13:
	s_endpgm
.LBB16_14:
	v_lshlrev_b32_e32 v7, 2, v8
	ds_read_b32 v7, v7
	s_or_b64 exec, exec, s[0:1]
	v_cmp_gt_u32_e32 vcc, 64, v0
	s_and_saveexec_b64 s[0:1], vcc
	s_cbranch_execz .LBB16_12
.LBB16_15:
	s_waitcnt lgkmcnt(0)
	ds_bpermute_b32 v2, v2, v7
	s_waitcnt lgkmcnt(0)
	v_add_f32_e32 v2, v7, v2
	ds_bpermute_b32 v1, v1, v2
	s_waitcnt lgkmcnt(0)
	v_add_f32_e32 v1, v2, v1
	;; [unrolled: 3-line block ×6, first 2 shown]
	s_or_b64 exec, exec, s[0:1]
	v_cmp_eq_u32_e32 vcc, 0, v0
	s_and_saveexec_b64 s[0:1], vcc
	s_cbranch_execz .LBB16_13
.LBB16_16:
	s_lshl_b64 s[0:1], s[2:3], 2
	s_add_u32 s0, s4, s0
	s_addc_u32 s1, s5, s1
	v_mov_b32_e32 v0, 0
	s_waitcnt lgkmcnt(0)
	global_store_dword v0, v7, s[0:1]
	s_endpgm
	.section	.rodata,"a",@progbits
	.p2align	6, 0x0
	.amdhsa_kernel _ZN2at6native12_GLOBAL__N_122pdist_kernel_cuda_implIfNS1_5distsIfE4zeroEEEvPT_PKS6_llS6_dd
		.amdhsa_group_segment_fixed_size 1024
		.amdhsa_private_segment_fixed_size 0
		.amdhsa_kernarg_size 312
		.amdhsa_user_sgpr_count 2
		.amdhsa_user_sgpr_dispatch_ptr 0
		.amdhsa_user_sgpr_queue_ptr 0
		.amdhsa_user_sgpr_kernarg_segment_ptr 1
		.amdhsa_user_sgpr_dispatch_id 0
		.amdhsa_user_sgpr_kernarg_preload_length 0
		.amdhsa_user_sgpr_kernarg_preload_offset 0
		.amdhsa_user_sgpr_private_segment_size 0
		.amdhsa_uses_dynamic_stack 0
		.amdhsa_enable_private_segment 0
		.amdhsa_system_sgpr_workgroup_id_x 1
		.amdhsa_system_sgpr_workgroup_id_y 0
		.amdhsa_system_sgpr_workgroup_id_z 0
		.amdhsa_system_sgpr_workgroup_info 0
		.amdhsa_system_vgpr_workitem_id 0
		.amdhsa_next_free_vgpr 16
		.amdhsa_next_free_sgpr 24
		.amdhsa_accum_offset 16
		.amdhsa_reserve_vcc 1
		.amdhsa_float_round_mode_32 0
		.amdhsa_float_round_mode_16_64 0
		.amdhsa_float_denorm_mode_32 3
		.amdhsa_float_denorm_mode_16_64 3
		.amdhsa_dx10_clamp 1
		.amdhsa_ieee_mode 1
		.amdhsa_fp16_overflow 0
		.amdhsa_tg_split 0
		.amdhsa_exception_fp_ieee_invalid_op 0
		.amdhsa_exception_fp_denorm_src 0
		.amdhsa_exception_fp_ieee_div_zero 0
		.amdhsa_exception_fp_ieee_overflow 0
		.amdhsa_exception_fp_ieee_underflow 0
		.amdhsa_exception_fp_ieee_inexact 0
		.amdhsa_exception_int_div_zero 0
	.end_amdhsa_kernel
	.section	.text._ZN2at6native12_GLOBAL__N_122pdist_kernel_cuda_implIfNS1_5distsIfE4zeroEEEvPT_PKS6_llS6_dd,"axG",@progbits,_ZN2at6native12_GLOBAL__N_122pdist_kernel_cuda_implIfNS1_5distsIfE4zeroEEEvPT_PKS6_llS6_dd,comdat
.Lfunc_end16:
	.size	_ZN2at6native12_GLOBAL__N_122pdist_kernel_cuda_implIfNS1_5distsIfE4zeroEEEvPT_PKS6_llS6_dd, .Lfunc_end16-_ZN2at6native12_GLOBAL__N_122pdist_kernel_cuda_implIfNS1_5distsIfE4zeroEEEvPT_PKS6_llS6_dd
                                        ; -- End function
	.set _ZN2at6native12_GLOBAL__N_122pdist_kernel_cuda_implIfNS1_5distsIfE4zeroEEEvPT_PKS6_llS6_dd.num_vgpr, 16
	.set _ZN2at6native12_GLOBAL__N_122pdist_kernel_cuda_implIfNS1_5distsIfE4zeroEEEvPT_PKS6_llS6_dd.num_agpr, 0
	.set _ZN2at6native12_GLOBAL__N_122pdist_kernel_cuda_implIfNS1_5distsIfE4zeroEEEvPT_PKS6_llS6_dd.numbered_sgpr, 24
	.set _ZN2at6native12_GLOBAL__N_122pdist_kernel_cuda_implIfNS1_5distsIfE4zeroEEEvPT_PKS6_llS6_dd.num_named_barrier, 0
	.set _ZN2at6native12_GLOBAL__N_122pdist_kernel_cuda_implIfNS1_5distsIfE4zeroEEEvPT_PKS6_llS6_dd.private_seg_size, 0
	.set _ZN2at6native12_GLOBAL__N_122pdist_kernel_cuda_implIfNS1_5distsIfE4zeroEEEvPT_PKS6_llS6_dd.uses_vcc, 1
	.set _ZN2at6native12_GLOBAL__N_122pdist_kernel_cuda_implIfNS1_5distsIfE4zeroEEEvPT_PKS6_llS6_dd.uses_flat_scratch, 0
	.set _ZN2at6native12_GLOBAL__N_122pdist_kernel_cuda_implIfNS1_5distsIfE4zeroEEEvPT_PKS6_llS6_dd.has_dyn_sized_stack, 0
	.set _ZN2at6native12_GLOBAL__N_122pdist_kernel_cuda_implIfNS1_5distsIfE4zeroEEEvPT_PKS6_llS6_dd.has_recursion, 0
	.set _ZN2at6native12_GLOBAL__N_122pdist_kernel_cuda_implIfNS1_5distsIfE4zeroEEEvPT_PKS6_llS6_dd.has_indirect_call, 0
	.section	.AMDGPU.csdata,"",@progbits
; Kernel info:
; codeLenInByte = 1160
; TotalNumSgprs: 30
; NumVgprs: 16
; NumAgprs: 0
; TotalNumVgprs: 16
; ScratchSize: 0
; MemoryBound: 0
; FloatMode: 240
; IeeeMode: 1
; LDSByteSize: 1024 bytes/workgroup (compile time only)
; SGPRBlocks: 3
; VGPRBlocks: 1
; NumSGPRsForWavesPerEU: 30
; NumVGPRsForWavesPerEU: 16
; AccumOffset: 16
; Occupancy: 8
; WaveLimiterHint : 0
; COMPUTE_PGM_RSRC2:SCRATCH_EN: 0
; COMPUTE_PGM_RSRC2:USER_SGPR: 2
; COMPUTE_PGM_RSRC2:TRAP_HANDLER: 0
; COMPUTE_PGM_RSRC2:TGID_X_EN: 1
; COMPUTE_PGM_RSRC2:TGID_Y_EN: 0
; COMPUTE_PGM_RSRC2:TGID_Z_EN: 0
; COMPUTE_PGM_RSRC2:TIDIG_COMP_CNT: 0
; COMPUTE_PGM_RSRC3_GFX90A:ACCUM_OFFSET: 3
; COMPUTE_PGM_RSRC3_GFX90A:TG_SPLIT: 0
	.section	.text._ZN2at6native12_GLOBAL__N_122pdist_kernel_cuda_implIfNS1_5distsIfE3oneEEEvPT_PKS6_llS6_dd,"axG",@progbits,_ZN2at6native12_GLOBAL__N_122pdist_kernel_cuda_implIfNS1_5distsIfE3oneEEEvPT_PKS6_llS6_dd,comdat
	.globl	_ZN2at6native12_GLOBAL__N_122pdist_kernel_cuda_implIfNS1_5distsIfE3oneEEEvPT_PKS6_llS6_dd ; -- Begin function _ZN2at6native12_GLOBAL__N_122pdist_kernel_cuda_implIfNS1_5distsIfE3oneEEEvPT_PKS6_llS6_dd
	.p2align	8
	.type	_ZN2at6native12_GLOBAL__N_122pdist_kernel_cuda_implIfNS1_5distsIfE3oneEEEvPT_PKS6_llS6_dd,@function
_ZN2at6native12_GLOBAL__N_122pdist_kernel_cuda_implIfNS1_5distsIfE3oneEEEvPT_PKS6_llS6_dd: ; @_ZN2at6native12_GLOBAL__N_122pdist_kernel_cuda_implIfNS1_5distsIfE3oneEEEvPT_PKS6_llS6_dd
; %bb.0:
	s_load_dwordx8 s[4:11], s[0:1], 0x0
	s_load_dword s14, s[0:1], 0x44
	v_mov_b32_e32 v1, 0
	s_mov_b32 s3, 0
	s_waitcnt lgkmcnt(0)
	v_cmp_gt_i64_e32 vcc, s[10:11], v[0:1]
	s_and_saveexec_b64 s[12:13], vcc
	s_cbranch_execz .LBB17_4
; %bb.1:
	s_load_dwordx4 s[16:19], s[0:1], 0x28
	s_lshl_b64 s[0:1], s[2:3], 1
	v_cvt_f64_u32_e32 v[2:3], s1
	v_ldexp_f64 v[2:3], v[2:3], 32
	v_cvt_f64_u32_e32 v[4:5], s0
	v_add_f64 v[2:3], v[2:3], v[4:5]
	s_mov_b32 s0, 0
	s_waitcnt lgkmcnt(0)
	v_add_f64 v[2:3], s[18:19], -v[2:3]
	s_brev_b32 s1, 8
	v_cmp_gt_f64_e32 vcc, s[0:1], v[2:3]
	s_and_b64 s[0:1], vcc, exec
	s_cselect_b32 s0, 0x100, 0
	v_ldexp_f64 v[2:3], v[2:3], s0
	v_rsq_f64_e32 v[4:5], v[2:3]
	s_cselect_b32 s0, 0xffffff80, 0
	v_mov_b32_e32 v1, 0x260
	v_cmp_class_f64_e32 vcc, v[2:3], v1
	v_mul_f64 v[6:7], v[2:3], v[4:5]
	v_mul_f64 v[4:5], v[4:5], 0.5
	v_fma_f64 v[8:9], -v[4:5], v[6:7], 0.5
	v_fmac_f64_e32 v[6:7], v[6:7], v[8:9]
	v_fma_f64 v[10:11], -v[6:7], v[6:7], v[2:3]
	v_fmac_f64_e32 v[4:5], v[4:5], v[8:9]
	v_fmac_f64_e32 v[6:7], v[10:11], v[4:5]
	v_fma_f64 v[8:9], -v[6:7], v[6:7], v[2:3]
	v_fmac_f64_e32 v[6:7], v[8:9], v[4:5]
	v_ldexp_f64 v[4:5], v[6:7], s0
	v_cndmask_b32_e32 v3, v5, v3, vcc
	v_cndmask_b32_e32 v2, v4, v2, vcc
	v_add_f64 v[2:3], s[16:17], -v[2:3]
	v_trunc_f64_e32 v[2:3], v[2:3]
	s_movk_i32 s0, 0xffe0
	v_ldexp_f64 v[4:5], v[2:3], s0
	v_floor_f64_e32 v[4:5], v[4:5]
	v_fmac_f64_e32 v[2:3], 0xc1f00000, v[4:5]
	v_cvt_u32_f64_e32 v1, v[2:3]
	v_cvt_i32_f64_e32 v2, v[4:5]
	v_mul_hi_u32 v4, s10, v1
	v_readfirstlane_b32 s16, v2
	v_mul_lo_u32 v2, s10, v2
	v_mul_lo_u32 v3, s11, v1
	v_add_u32_e32 v2, v4, v2
	v_add_u32_e32 v3, v2, v3
	v_mul_lo_u32 v2, s10, v1
	v_lshlrev_b64 v[2:3], 2, v[2:3]
	v_readfirstlane_b32 s15, v1
	v_lshl_add_u64 v[6:7], s[6:7], 0, v[2:3]
	s_lshl_b64 s[0:1], s[10:11], 2
	v_lshl_add_u64 v[4:5], v[6:7], 0, s[0:1]
	s_add_u32 s0, s15, 1
	s_addc_u32 s1, s16, 0
	s_add_u32 s17, s0, s2
	s_mul_hi_u32 s19, s8, s15
	s_mul_i32 s20, s8, s16
	s_addc_u32 s18, s1, 0
	s_mul_i32 s9, s9, s15
	s_add_i32 s19, s19, s20
	s_add_i32 s19, s19, s9
	s_mul_i32 s8, s8, s15
	s_sub_u32 s8, s17, s8
	s_mul_hi_u32 s17, s0, s15
	s_mul_i32 s16, s0, s16
	s_subb_u32 s9, s18, s19
	s_mul_i32 s1, s1, s15
	s_add_i32 s16, s17, s16
	s_add_i32 s16, s16, s1
	s_mul_i32 s0, s0, s15
	s_lshr_b32 s1, s16, 31
	s_add_u32 s0, s0, s1
	s_addc_u32 s1, s16, 0
	s_ashr_i64 s[0:1], s[0:1], 1
	s_add_u32 s0, s8, s0
	s_addc_u32 s1, s9, s1
	s_mul_i32 s1, s10, s1
	s_mul_hi_u32 s8, s10, s0
	s_add_i32 s1, s8, s1
	s_mul_i32 s8, s11, s0
	v_lshlrev_b32_e32 v10, 2, v0
	v_mov_b32_e32 v11, 0
	s_and_b32 s15, s14, 0xffff
	s_add_i32 s1, s1, s8
	s_mul_i32 s0, s10, s0
	v_lshl_add_u64 v[6:7], v[6:7], 0, v[10:11]
	s_lshl_b64 s[0:1], s[0:1], 2
	v_lshl_add_u64 v[8:9], s[6:7], 0, v[10:11]
	s_lshl_b32 s6, s15, 2
	s_mov_b32 s7, s3
	s_mov_b64 s[8:9], 0
	s_lshl_b32 s10, s15, 2
	s_mov_b32 s11, s3
	v_mov_b32_e32 v1, v11
.LBB17_2:                               ; =>This Inner Loop Header: Depth=1
	v_lshl_add_u64 v[12:13], v[8:9], 0, v[2:3]
	v_lshl_add_u64 v[10:11], v[8:9], 0, s[0:1]
	global_load_dword v14, v[12:13], off
	global_load_dword v15, v[10:11], off
	v_lshl_add_u64 v[6:7], v[6:7], 0, s[10:11]
	v_cmp_ge_u64_e32 vcc, v[6:7], v[4:5]
	v_lshl_add_u64 v[8:9], v[8:9], 0, s[6:7]
	s_or_b64 s[8:9], vcc, s[8:9]
	s_waitcnt vmcnt(0)
	v_sub_f32_e32 v10, v14, v15
	v_add_f32_e64 v1, v1, |v10|
	s_andn2_b64 exec, exec, s[8:9]
	s_cbranch_execnz .LBB17_2
; %bb.3:
	s_or_b64 exec, exec, s[8:9]
.LBB17_4:
	s_or_b64 exec, exec, s[12:13]
	v_mbcnt_lo_u32_b32 v2, -1, 0
	v_mbcnt_hi_u32_b32 v6, -1, v2
	v_mov_b32_e32 v2, 0x80
	v_lshl_or_b32 v2, v6, 2, v2
	ds_bpermute_b32 v3, v2, v1
	v_and_b32_e32 v7, 63, v6
	v_cmp_gt_u32_e32 vcc, 48, v7
	s_waitcnt lgkmcnt(0)
	s_barrier
	v_cndmask_b32_e64 v4, 0, 16, vcc
	v_add_f32_e32 v5, v1, v3
	v_add_lshl_u32 v1, v4, v6, 2
	ds_bpermute_b32 v4, v1, v5
	v_cmp_gt_u32_e32 vcc, 56, v7
	s_waitcnt lgkmcnt(0)
	v_add_f32_e32 v5, v5, v4
	v_cndmask_b32_e64 v3, 0, 8, vcc
	v_add_lshl_u32 v3, v3, v6, 2
	ds_bpermute_b32 v8, v3, v5
	v_cmp_gt_u32_e32 vcc, 60, v7
	s_waitcnt lgkmcnt(0)
	v_add_f32_e32 v8, v5, v8
	v_cndmask_b32_e64 v4, 0, 4, vcc
	v_add_lshl_u32 v4, v4, v6, 2
	ds_bpermute_b32 v9, v4, v8
	v_cmp_gt_u32_e32 vcc, 62, v7
	s_waitcnt lgkmcnt(0)
	v_add_f32_e32 v9, v8, v9
	v_cndmask_b32_e64 v5, 0, 2, vcc
	v_add_lshl_u32 v5, v5, v6, 2
	ds_bpermute_b32 v10, v5, v9
	v_cmp_ne_u32_e32 vcc, 63, v7
	v_and_b32_e32 v8, 63, v0
	s_waitcnt lgkmcnt(0)
	v_add_f32_e32 v7, v9, v10
	v_addc_co_u32_e32 v6, vcc, 0, v6, vcc
	v_lshlrev_b32_e32 v6, 2, v6
	ds_bpermute_b32 v9, v6, v7
	v_cmp_eq_u32_e32 vcc, 0, v8
	s_and_saveexec_b64 s[0:1], vcc
	s_cbranch_execz .LBB17_6
; %bb.5:
	s_waitcnt lgkmcnt(0)
	v_add_f32_e32 v7, v7, v9
	v_lshrrev_b32_e32 v9, 4, v0
	ds_write_b32 v9, v7
.LBB17_6:
	s_or_b64 exec, exec, s[0:1]
	s_and_b32 s0, 0xffff, s14
	s_lshr_b32 s0, s0, 6
	v_cmp_gt_u32_e32 vcc, s0, v0
	v_mov_b32_e32 v7, 0
	s_waitcnt lgkmcnt(0)
	s_barrier
	s_and_saveexec_b64 s[0:1], vcc
	s_cbranch_execnz .LBB17_10
; %bb.7:
	s_or_b64 exec, exec, s[0:1]
	v_cmp_gt_u32_e32 vcc, 64, v0
	s_and_saveexec_b64 s[0:1], vcc
	s_cbranch_execnz .LBB17_11
.LBB17_8:
	s_or_b64 exec, exec, s[0:1]
	v_cmp_eq_u32_e32 vcc, 0, v0
	s_and_saveexec_b64 s[0:1], vcc
	s_cbranch_execnz .LBB17_12
.LBB17_9:
	s_endpgm
.LBB17_10:
	v_lshlrev_b32_e32 v7, 2, v8
	ds_read_b32 v7, v7
	s_or_b64 exec, exec, s[0:1]
	v_cmp_gt_u32_e32 vcc, 64, v0
	s_and_saveexec_b64 s[0:1], vcc
	s_cbranch_execz .LBB17_8
.LBB17_11:
	s_waitcnt lgkmcnt(0)
	ds_bpermute_b32 v2, v2, v7
	s_waitcnt lgkmcnt(0)
	v_add_f32_e32 v2, v7, v2
	ds_bpermute_b32 v1, v1, v2
	s_waitcnt lgkmcnt(0)
	v_add_f32_e32 v1, v2, v1
	ds_bpermute_b32 v2, v3, v1
	s_waitcnt lgkmcnt(0)
	v_add_f32_e32 v1, v1, v2
	ds_bpermute_b32 v2, v4, v1
	s_waitcnt lgkmcnt(0)
	v_add_f32_e32 v1, v1, v2
	ds_bpermute_b32 v2, v5, v1
	s_waitcnt lgkmcnt(0)
	v_add_f32_e32 v1, v1, v2
	ds_bpermute_b32 v2, v6, v1
	s_waitcnt lgkmcnt(0)
	v_add_f32_e32 v7, v1, v2
	s_or_b64 exec, exec, s[0:1]
	v_cmp_eq_u32_e32 vcc, 0, v0
	s_and_saveexec_b64 s[0:1], vcc
	s_cbranch_execz .LBB17_9
.LBB17_12:
	s_lshl_b64 s[0:1], s[2:3], 2
	s_add_u32 s0, s4, s0
	s_addc_u32 s1, s5, s1
	v_mov_b32_e32 v0, 0
	s_waitcnt lgkmcnt(0)
	global_store_dword v0, v7, s[0:1]
	s_endpgm
	.section	.rodata,"a",@progbits
	.p2align	6, 0x0
	.amdhsa_kernel _ZN2at6native12_GLOBAL__N_122pdist_kernel_cuda_implIfNS1_5distsIfE3oneEEEvPT_PKS6_llS6_dd
		.amdhsa_group_segment_fixed_size 1024
		.amdhsa_private_segment_fixed_size 0
		.amdhsa_kernarg_size 312
		.amdhsa_user_sgpr_count 2
		.amdhsa_user_sgpr_dispatch_ptr 0
		.amdhsa_user_sgpr_queue_ptr 0
		.amdhsa_user_sgpr_kernarg_segment_ptr 1
		.amdhsa_user_sgpr_dispatch_id 0
		.amdhsa_user_sgpr_kernarg_preload_length 0
		.amdhsa_user_sgpr_kernarg_preload_offset 0
		.amdhsa_user_sgpr_private_segment_size 0
		.amdhsa_uses_dynamic_stack 0
		.amdhsa_enable_private_segment 0
		.amdhsa_system_sgpr_workgroup_id_x 1
		.amdhsa_system_sgpr_workgroup_id_y 0
		.amdhsa_system_sgpr_workgroup_id_z 0
		.amdhsa_system_sgpr_workgroup_info 0
		.amdhsa_system_vgpr_workitem_id 0
		.amdhsa_next_free_vgpr 16
		.amdhsa_next_free_sgpr 21
		.amdhsa_accum_offset 16
		.amdhsa_reserve_vcc 1
		.amdhsa_float_round_mode_32 0
		.amdhsa_float_round_mode_16_64 0
		.amdhsa_float_denorm_mode_32 3
		.amdhsa_float_denorm_mode_16_64 3
		.amdhsa_dx10_clamp 1
		.amdhsa_ieee_mode 1
		.amdhsa_fp16_overflow 0
		.amdhsa_tg_split 0
		.amdhsa_exception_fp_ieee_invalid_op 0
		.amdhsa_exception_fp_denorm_src 0
		.amdhsa_exception_fp_ieee_div_zero 0
		.amdhsa_exception_fp_ieee_overflow 0
		.amdhsa_exception_fp_ieee_underflow 0
		.amdhsa_exception_fp_ieee_inexact 0
		.amdhsa_exception_int_div_zero 0
	.end_amdhsa_kernel
	.section	.text._ZN2at6native12_GLOBAL__N_122pdist_kernel_cuda_implIfNS1_5distsIfE3oneEEEvPT_PKS6_llS6_dd,"axG",@progbits,_ZN2at6native12_GLOBAL__N_122pdist_kernel_cuda_implIfNS1_5distsIfE3oneEEEvPT_PKS6_llS6_dd,comdat
.Lfunc_end17:
	.size	_ZN2at6native12_GLOBAL__N_122pdist_kernel_cuda_implIfNS1_5distsIfE3oneEEEvPT_PKS6_llS6_dd, .Lfunc_end17-_ZN2at6native12_GLOBAL__N_122pdist_kernel_cuda_implIfNS1_5distsIfE3oneEEEvPT_PKS6_llS6_dd
                                        ; -- End function
	.set _ZN2at6native12_GLOBAL__N_122pdist_kernel_cuda_implIfNS1_5distsIfE3oneEEEvPT_PKS6_llS6_dd.num_vgpr, 16
	.set _ZN2at6native12_GLOBAL__N_122pdist_kernel_cuda_implIfNS1_5distsIfE3oneEEEvPT_PKS6_llS6_dd.num_agpr, 0
	.set _ZN2at6native12_GLOBAL__N_122pdist_kernel_cuda_implIfNS1_5distsIfE3oneEEEvPT_PKS6_llS6_dd.numbered_sgpr, 21
	.set _ZN2at6native12_GLOBAL__N_122pdist_kernel_cuda_implIfNS1_5distsIfE3oneEEEvPT_PKS6_llS6_dd.num_named_barrier, 0
	.set _ZN2at6native12_GLOBAL__N_122pdist_kernel_cuda_implIfNS1_5distsIfE3oneEEEvPT_PKS6_llS6_dd.private_seg_size, 0
	.set _ZN2at6native12_GLOBAL__N_122pdist_kernel_cuda_implIfNS1_5distsIfE3oneEEEvPT_PKS6_llS6_dd.uses_vcc, 1
	.set _ZN2at6native12_GLOBAL__N_122pdist_kernel_cuda_implIfNS1_5distsIfE3oneEEEvPT_PKS6_llS6_dd.uses_flat_scratch, 0
	.set _ZN2at6native12_GLOBAL__N_122pdist_kernel_cuda_implIfNS1_5distsIfE3oneEEEvPT_PKS6_llS6_dd.has_dyn_sized_stack, 0
	.set _ZN2at6native12_GLOBAL__N_122pdist_kernel_cuda_implIfNS1_5distsIfE3oneEEEvPT_PKS6_llS6_dd.has_recursion, 0
	.set _ZN2at6native12_GLOBAL__N_122pdist_kernel_cuda_implIfNS1_5distsIfE3oneEEEvPT_PKS6_llS6_dd.has_indirect_call, 0
	.section	.AMDGPU.csdata,"",@progbits
; Kernel info:
; codeLenInByte = 1112
; TotalNumSgprs: 27
; NumVgprs: 16
; NumAgprs: 0
; TotalNumVgprs: 16
; ScratchSize: 0
; MemoryBound: 0
; FloatMode: 240
; IeeeMode: 1
; LDSByteSize: 1024 bytes/workgroup (compile time only)
; SGPRBlocks: 3
; VGPRBlocks: 1
; NumSGPRsForWavesPerEU: 27
; NumVGPRsForWavesPerEU: 16
; AccumOffset: 16
; Occupancy: 8
; WaveLimiterHint : 0
; COMPUTE_PGM_RSRC2:SCRATCH_EN: 0
; COMPUTE_PGM_RSRC2:USER_SGPR: 2
; COMPUTE_PGM_RSRC2:TRAP_HANDLER: 0
; COMPUTE_PGM_RSRC2:TGID_X_EN: 1
; COMPUTE_PGM_RSRC2:TGID_Y_EN: 0
; COMPUTE_PGM_RSRC2:TGID_Z_EN: 0
; COMPUTE_PGM_RSRC2:TIDIG_COMP_CNT: 0
; COMPUTE_PGM_RSRC3_GFX90A:ACCUM_OFFSET: 3
; COMPUTE_PGM_RSRC3_GFX90A:TG_SPLIT: 0
	.section	.text._ZN2at6native12_GLOBAL__N_122pdist_kernel_cuda_implIfNS1_5distsIfE3twoEEEvPT_PKS6_llS6_dd,"axG",@progbits,_ZN2at6native12_GLOBAL__N_122pdist_kernel_cuda_implIfNS1_5distsIfE3twoEEEvPT_PKS6_llS6_dd,comdat
	.globl	_ZN2at6native12_GLOBAL__N_122pdist_kernel_cuda_implIfNS1_5distsIfE3twoEEEvPT_PKS6_llS6_dd ; -- Begin function _ZN2at6native12_GLOBAL__N_122pdist_kernel_cuda_implIfNS1_5distsIfE3twoEEEvPT_PKS6_llS6_dd
	.p2align	8
	.type	_ZN2at6native12_GLOBAL__N_122pdist_kernel_cuda_implIfNS1_5distsIfE3twoEEEvPT_PKS6_llS6_dd,@function
_ZN2at6native12_GLOBAL__N_122pdist_kernel_cuda_implIfNS1_5distsIfE3twoEEEvPT_PKS6_llS6_dd: ; @_ZN2at6native12_GLOBAL__N_122pdist_kernel_cuda_implIfNS1_5distsIfE3twoEEEvPT_PKS6_llS6_dd
; %bb.0:
	s_load_dwordx8 s[4:11], s[0:1], 0x0
	s_load_dword s14, s[0:1], 0x44
	v_mov_b32_e32 v1, 0
	s_mov_b32 s3, 0
	s_waitcnt lgkmcnt(0)
	v_cmp_gt_i64_e32 vcc, s[10:11], v[0:1]
	s_and_saveexec_b64 s[12:13], vcc
	s_cbranch_execz .LBB18_4
; %bb.1:
	s_load_dwordx4 s[16:19], s[0:1], 0x28
	s_lshl_b64 s[0:1], s[2:3], 1
	v_cvt_f64_u32_e32 v[2:3], s1
	v_ldexp_f64 v[2:3], v[2:3], 32
	v_cvt_f64_u32_e32 v[4:5], s0
	v_add_f64 v[2:3], v[2:3], v[4:5]
	s_mov_b32 s0, 0
	s_waitcnt lgkmcnt(0)
	v_add_f64 v[2:3], s[18:19], -v[2:3]
	s_brev_b32 s1, 8
	v_cmp_gt_f64_e32 vcc, s[0:1], v[2:3]
	s_and_b64 s[0:1], vcc, exec
	s_cselect_b32 s0, 0x100, 0
	v_ldexp_f64 v[2:3], v[2:3], s0
	v_rsq_f64_e32 v[4:5], v[2:3]
	s_cselect_b32 s0, 0xffffff80, 0
	v_mov_b32_e32 v1, 0x260
	v_cmp_class_f64_e32 vcc, v[2:3], v1
	v_mul_f64 v[6:7], v[2:3], v[4:5]
	v_mul_f64 v[4:5], v[4:5], 0.5
	v_fma_f64 v[8:9], -v[4:5], v[6:7], 0.5
	v_fmac_f64_e32 v[6:7], v[6:7], v[8:9]
	v_fma_f64 v[10:11], -v[6:7], v[6:7], v[2:3]
	v_fmac_f64_e32 v[4:5], v[4:5], v[8:9]
	v_fmac_f64_e32 v[6:7], v[10:11], v[4:5]
	v_fma_f64 v[8:9], -v[6:7], v[6:7], v[2:3]
	v_fmac_f64_e32 v[6:7], v[8:9], v[4:5]
	v_ldexp_f64 v[4:5], v[6:7], s0
	v_cndmask_b32_e32 v3, v5, v3, vcc
	v_cndmask_b32_e32 v2, v4, v2, vcc
	v_add_f64 v[2:3], s[16:17], -v[2:3]
	v_trunc_f64_e32 v[2:3], v[2:3]
	s_movk_i32 s0, 0xffe0
	v_ldexp_f64 v[4:5], v[2:3], s0
	v_floor_f64_e32 v[4:5], v[4:5]
	v_fmac_f64_e32 v[2:3], 0xc1f00000, v[4:5]
	v_cvt_u32_f64_e32 v1, v[2:3]
	v_cvt_i32_f64_e32 v2, v[4:5]
	v_mul_hi_u32 v4, s10, v1
	v_readfirstlane_b32 s16, v2
	v_mul_lo_u32 v2, s10, v2
	v_mul_lo_u32 v3, s11, v1
	v_add_u32_e32 v2, v4, v2
	v_add_u32_e32 v3, v2, v3
	v_mul_lo_u32 v2, s10, v1
	v_lshlrev_b64 v[2:3], 2, v[2:3]
	v_readfirstlane_b32 s15, v1
	v_lshl_add_u64 v[6:7], s[6:7], 0, v[2:3]
	s_lshl_b64 s[0:1], s[10:11], 2
	v_lshl_add_u64 v[4:5], v[6:7], 0, s[0:1]
	s_add_u32 s0, s15, 1
	s_addc_u32 s1, s16, 0
	s_add_u32 s17, s0, s2
	s_mul_hi_u32 s19, s8, s15
	s_mul_i32 s20, s8, s16
	s_addc_u32 s18, s1, 0
	s_mul_i32 s9, s9, s15
	s_add_i32 s19, s19, s20
	s_add_i32 s19, s19, s9
	s_mul_i32 s8, s8, s15
	s_sub_u32 s8, s17, s8
	s_mul_hi_u32 s17, s0, s15
	s_mul_i32 s16, s0, s16
	s_subb_u32 s9, s18, s19
	s_mul_i32 s1, s1, s15
	s_add_i32 s16, s17, s16
	s_add_i32 s16, s16, s1
	s_mul_i32 s0, s0, s15
	s_lshr_b32 s1, s16, 31
	s_add_u32 s0, s0, s1
	s_addc_u32 s1, s16, 0
	s_ashr_i64 s[0:1], s[0:1], 1
	s_add_u32 s0, s8, s0
	s_addc_u32 s1, s9, s1
	s_mul_i32 s1, s10, s1
	s_mul_hi_u32 s8, s10, s0
	s_add_i32 s1, s8, s1
	s_mul_i32 s8, s11, s0
	v_lshlrev_b32_e32 v10, 2, v0
	v_mov_b32_e32 v11, 0
	s_and_b32 s15, s14, 0xffff
	s_add_i32 s1, s1, s8
	s_mul_i32 s0, s10, s0
	v_lshl_add_u64 v[6:7], v[6:7], 0, v[10:11]
	s_lshl_b64 s[0:1], s[0:1], 2
	v_lshl_add_u64 v[8:9], s[6:7], 0, v[10:11]
	s_lshl_b32 s6, s15, 2
	s_mov_b32 s7, s3
	s_mov_b64 s[8:9], 0
	s_lshl_b32 s10, s15, 2
	s_mov_b32 s11, s3
	v_mov_b32_e32 v1, v11
.LBB18_2:                               ; =>This Inner Loop Header: Depth=1
	v_lshl_add_u64 v[12:13], v[8:9], 0, v[2:3]
	v_lshl_add_u64 v[10:11], v[8:9], 0, s[0:1]
	global_load_dword v14, v[12:13], off
	global_load_dword v15, v[10:11], off
	v_lshl_add_u64 v[6:7], v[6:7], 0, s[10:11]
	v_cmp_ge_u64_e32 vcc, v[6:7], v[4:5]
	v_lshl_add_u64 v[8:9], v[8:9], 0, s[6:7]
	s_or_b64 s[8:9], vcc, s[8:9]
	s_waitcnt vmcnt(0)
	v_sub_f32_e32 v10, v14, v15
	v_fmac_f32_e32 v1, v10, v10
	s_andn2_b64 exec, exec, s[8:9]
	s_cbranch_execnz .LBB18_2
; %bb.3:
	s_or_b64 exec, exec, s[8:9]
.LBB18_4:
	s_or_b64 exec, exec, s[12:13]
	v_mbcnt_lo_u32_b32 v2, -1, 0
	v_mbcnt_hi_u32_b32 v6, -1, v2
	v_mov_b32_e32 v2, 0x80
	v_lshl_or_b32 v2, v6, 2, v2
	ds_bpermute_b32 v3, v2, v1
	v_and_b32_e32 v7, 63, v6
	v_cmp_gt_u32_e32 vcc, 48, v7
	s_waitcnt lgkmcnt(0)
	s_barrier
	v_cndmask_b32_e64 v4, 0, 16, vcc
	v_add_f32_e32 v5, v1, v3
	v_add_lshl_u32 v1, v4, v6, 2
	ds_bpermute_b32 v4, v1, v5
	v_cmp_gt_u32_e32 vcc, 56, v7
	s_waitcnt lgkmcnt(0)
	v_add_f32_e32 v5, v5, v4
	v_cndmask_b32_e64 v3, 0, 8, vcc
	v_add_lshl_u32 v3, v3, v6, 2
	ds_bpermute_b32 v8, v3, v5
	v_cmp_gt_u32_e32 vcc, 60, v7
	s_waitcnt lgkmcnt(0)
	v_add_f32_e32 v8, v5, v8
	v_cndmask_b32_e64 v4, 0, 4, vcc
	;; [unrolled: 6-line block ×3, first 2 shown]
	v_add_lshl_u32 v5, v5, v6, 2
	ds_bpermute_b32 v10, v5, v9
	v_cmp_ne_u32_e32 vcc, 63, v7
	v_and_b32_e32 v8, 63, v0
	s_waitcnt lgkmcnt(0)
	v_add_f32_e32 v7, v9, v10
	v_addc_co_u32_e32 v6, vcc, 0, v6, vcc
	v_lshlrev_b32_e32 v6, 2, v6
	ds_bpermute_b32 v9, v6, v7
	v_cmp_eq_u32_e32 vcc, 0, v8
	s_and_saveexec_b64 s[0:1], vcc
	s_cbranch_execz .LBB18_6
; %bb.5:
	s_waitcnt lgkmcnt(0)
	v_add_f32_e32 v7, v7, v9
	v_lshrrev_b32_e32 v9, 4, v0
	ds_write_b32 v9, v7
.LBB18_6:
	s_or_b64 exec, exec, s[0:1]
	s_and_b32 s0, 0xffff, s14
	s_lshr_b32 s0, s0, 6
	v_cmp_gt_u32_e32 vcc, s0, v0
	v_mov_b32_e32 v7, 0
	s_waitcnt lgkmcnt(0)
	s_barrier
	s_and_saveexec_b64 s[0:1], vcc
	s_cbranch_execnz .LBB18_10
; %bb.7:
	s_or_b64 exec, exec, s[0:1]
	v_cmp_gt_u32_e32 vcc, 64, v0
	s_and_saveexec_b64 s[0:1], vcc
	s_cbranch_execnz .LBB18_11
.LBB18_8:
	s_or_b64 exec, exec, s[0:1]
	v_cmp_eq_u32_e32 vcc, 0, v0
	s_and_saveexec_b64 s[0:1], vcc
	s_cbranch_execnz .LBB18_12
.LBB18_9:
	s_endpgm
.LBB18_10:
	v_lshlrev_b32_e32 v7, 2, v8
	ds_read_b32 v7, v7
	s_or_b64 exec, exec, s[0:1]
	v_cmp_gt_u32_e32 vcc, 64, v0
	s_and_saveexec_b64 s[0:1], vcc
	s_cbranch_execz .LBB18_8
.LBB18_11:
	s_waitcnt lgkmcnt(0)
	ds_bpermute_b32 v2, v2, v7
	s_waitcnt lgkmcnt(0)
	v_add_f32_e32 v2, v7, v2
	ds_bpermute_b32 v1, v1, v2
	s_waitcnt lgkmcnt(0)
	v_add_f32_e32 v1, v2, v1
	;; [unrolled: 3-line block ×6, first 2 shown]
	s_or_b64 exec, exec, s[0:1]
	v_cmp_eq_u32_e32 vcc, 0, v0
	s_and_saveexec_b64 s[0:1], vcc
	s_cbranch_execz .LBB18_9
.LBB18_12:
	s_lshl_b64 s[0:1], s[2:3], 2
	s_mov_b32 s2, 0xf800000
	s_waitcnt lgkmcnt(0)
	v_mul_f32_e32 v0, 0x4f800000, v7
	v_cmp_gt_f32_e32 vcc, s2, v7
	s_add_u32 s2, s4, s0
	s_addc_u32 s3, s5, s1
	v_cndmask_b32_e32 v0, v7, v0, vcc
	v_sqrt_f32_e32 v1, v0
	v_mov_b32_e32 v2, 0
	v_add_u32_e32 v3, -1, v1
	v_fma_f32 v4, -v3, v1, v0
	v_cmp_ge_f32_e64 s[0:1], 0, v4
	v_add_u32_e32 v4, 1, v1
	s_nop 0
	v_cndmask_b32_e64 v3, v1, v3, s[0:1]
	v_fma_f32 v1, -v4, v1, v0
	v_cmp_lt_f32_e64 s[0:1], 0, v1
	s_nop 1
	v_cndmask_b32_e64 v1, v3, v4, s[0:1]
	v_mul_f32_e32 v3, 0x37800000, v1
	v_cndmask_b32_e32 v1, v1, v3, vcc
	v_mov_b32_e32 v3, 0x260
	v_cmp_class_f32_e32 vcc, v0, v3
	s_nop 1
	v_cndmask_b32_e32 v0, v1, v0, vcc
	global_store_dword v2, v0, s[2:3]
	s_endpgm
	.section	.rodata,"a",@progbits
	.p2align	6, 0x0
	.amdhsa_kernel _ZN2at6native12_GLOBAL__N_122pdist_kernel_cuda_implIfNS1_5distsIfE3twoEEEvPT_PKS6_llS6_dd
		.amdhsa_group_segment_fixed_size 1024
		.amdhsa_private_segment_fixed_size 0
		.amdhsa_kernarg_size 312
		.amdhsa_user_sgpr_count 2
		.amdhsa_user_sgpr_dispatch_ptr 0
		.amdhsa_user_sgpr_queue_ptr 0
		.amdhsa_user_sgpr_kernarg_segment_ptr 1
		.amdhsa_user_sgpr_dispatch_id 0
		.amdhsa_user_sgpr_kernarg_preload_length 0
		.amdhsa_user_sgpr_kernarg_preload_offset 0
		.amdhsa_user_sgpr_private_segment_size 0
		.amdhsa_uses_dynamic_stack 0
		.amdhsa_enable_private_segment 0
		.amdhsa_system_sgpr_workgroup_id_x 1
		.amdhsa_system_sgpr_workgroup_id_y 0
		.amdhsa_system_sgpr_workgroup_id_z 0
		.amdhsa_system_sgpr_workgroup_info 0
		.amdhsa_system_vgpr_workitem_id 0
		.amdhsa_next_free_vgpr 16
		.amdhsa_next_free_sgpr 21
		.amdhsa_accum_offset 16
		.amdhsa_reserve_vcc 1
		.amdhsa_float_round_mode_32 0
		.amdhsa_float_round_mode_16_64 0
		.amdhsa_float_denorm_mode_32 3
		.amdhsa_float_denorm_mode_16_64 3
		.amdhsa_dx10_clamp 1
		.amdhsa_ieee_mode 1
		.amdhsa_fp16_overflow 0
		.amdhsa_tg_split 0
		.amdhsa_exception_fp_ieee_invalid_op 0
		.amdhsa_exception_fp_denorm_src 0
		.amdhsa_exception_fp_ieee_div_zero 0
		.amdhsa_exception_fp_ieee_overflow 0
		.amdhsa_exception_fp_ieee_underflow 0
		.amdhsa_exception_fp_ieee_inexact 0
		.amdhsa_exception_int_div_zero 0
	.end_amdhsa_kernel
	.section	.text._ZN2at6native12_GLOBAL__N_122pdist_kernel_cuda_implIfNS1_5distsIfE3twoEEEvPT_PKS6_llS6_dd,"axG",@progbits,_ZN2at6native12_GLOBAL__N_122pdist_kernel_cuda_implIfNS1_5distsIfE3twoEEEvPT_PKS6_llS6_dd,comdat
.Lfunc_end18:
	.size	_ZN2at6native12_GLOBAL__N_122pdist_kernel_cuda_implIfNS1_5distsIfE3twoEEEvPT_PKS6_llS6_dd, .Lfunc_end18-_ZN2at6native12_GLOBAL__N_122pdist_kernel_cuda_implIfNS1_5distsIfE3twoEEEvPT_PKS6_llS6_dd
                                        ; -- End function
	.set _ZN2at6native12_GLOBAL__N_122pdist_kernel_cuda_implIfNS1_5distsIfE3twoEEEvPT_PKS6_llS6_dd.num_vgpr, 16
	.set _ZN2at6native12_GLOBAL__N_122pdist_kernel_cuda_implIfNS1_5distsIfE3twoEEEvPT_PKS6_llS6_dd.num_agpr, 0
	.set _ZN2at6native12_GLOBAL__N_122pdist_kernel_cuda_implIfNS1_5distsIfE3twoEEEvPT_PKS6_llS6_dd.numbered_sgpr, 21
	.set _ZN2at6native12_GLOBAL__N_122pdist_kernel_cuda_implIfNS1_5distsIfE3twoEEEvPT_PKS6_llS6_dd.num_named_barrier, 0
	.set _ZN2at6native12_GLOBAL__N_122pdist_kernel_cuda_implIfNS1_5distsIfE3twoEEEvPT_PKS6_llS6_dd.private_seg_size, 0
	.set _ZN2at6native12_GLOBAL__N_122pdist_kernel_cuda_implIfNS1_5distsIfE3twoEEEvPT_PKS6_llS6_dd.uses_vcc, 1
	.set _ZN2at6native12_GLOBAL__N_122pdist_kernel_cuda_implIfNS1_5distsIfE3twoEEEvPT_PKS6_llS6_dd.uses_flat_scratch, 0
	.set _ZN2at6native12_GLOBAL__N_122pdist_kernel_cuda_implIfNS1_5distsIfE3twoEEEvPT_PKS6_llS6_dd.has_dyn_sized_stack, 0
	.set _ZN2at6native12_GLOBAL__N_122pdist_kernel_cuda_implIfNS1_5distsIfE3twoEEEvPT_PKS6_llS6_dd.has_recursion, 0
	.set _ZN2at6native12_GLOBAL__N_122pdist_kernel_cuda_implIfNS1_5distsIfE3twoEEEvPT_PKS6_llS6_dd.has_indirect_call, 0
	.section	.AMDGPU.csdata,"",@progbits
; Kernel info:
; codeLenInByte = 1232
; TotalNumSgprs: 27
; NumVgprs: 16
; NumAgprs: 0
; TotalNumVgprs: 16
; ScratchSize: 0
; MemoryBound: 0
; FloatMode: 240
; IeeeMode: 1
; LDSByteSize: 1024 bytes/workgroup (compile time only)
; SGPRBlocks: 3
; VGPRBlocks: 1
; NumSGPRsForWavesPerEU: 27
; NumVGPRsForWavesPerEU: 16
; AccumOffset: 16
; Occupancy: 8
; WaveLimiterHint : 0
; COMPUTE_PGM_RSRC2:SCRATCH_EN: 0
; COMPUTE_PGM_RSRC2:USER_SGPR: 2
; COMPUTE_PGM_RSRC2:TRAP_HANDLER: 0
; COMPUTE_PGM_RSRC2:TGID_X_EN: 1
; COMPUTE_PGM_RSRC2:TGID_Y_EN: 0
; COMPUTE_PGM_RSRC2:TGID_Z_EN: 0
; COMPUTE_PGM_RSRC2:TIDIG_COMP_CNT: 0
; COMPUTE_PGM_RSRC3_GFX90A:ACCUM_OFFSET: 3
; COMPUTE_PGM_RSRC3_GFX90A:TG_SPLIT: 0
	.section	.text._ZN2at6native12_GLOBAL__N_122pdist_kernel_cuda_implIfNS1_5distsIfE3infEEEvPT_PKS6_llS6_dd,"axG",@progbits,_ZN2at6native12_GLOBAL__N_122pdist_kernel_cuda_implIfNS1_5distsIfE3infEEEvPT_PKS6_llS6_dd,comdat
	.globl	_ZN2at6native12_GLOBAL__N_122pdist_kernel_cuda_implIfNS1_5distsIfE3infEEEvPT_PKS6_llS6_dd ; -- Begin function _ZN2at6native12_GLOBAL__N_122pdist_kernel_cuda_implIfNS1_5distsIfE3infEEEvPT_PKS6_llS6_dd
	.p2align	8
	.type	_ZN2at6native12_GLOBAL__N_122pdist_kernel_cuda_implIfNS1_5distsIfE3infEEEvPT_PKS6_llS6_dd,@function
_ZN2at6native12_GLOBAL__N_122pdist_kernel_cuda_implIfNS1_5distsIfE3infEEEvPT_PKS6_llS6_dd: ; @_ZN2at6native12_GLOBAL__N_122pdist_kernel_cuda_implIfNS1_5distsIfE3infEEEvPT_PKS6_llS6_dd
; %bb.0:
	s_load_dwordx8 s[4:11], s[0:1], 0x0
	s_load_dword s14, s[0:1], 0x44
	v_mov_b32_e32 v1, 0
	s_mov_b32 s3, 0
	s_waitcnt lgkmcnt(0)
	v_cmp_gt_i64_e32 vcc, s[10:11], v[0:1]
	s_and_saveexec_b64 s[12:13], vcc
	s_cbranch_execz .LBB19_4
; %bb.1:
	s_load_dwordx4 s[16:19], s[0:1], 0x28
	s_lshl_b64 s[0:1], s[2:3], 1
	v_cvt_f64_u32_e32 v[2:3], s1
	v_ldexp_f64 v[2:3], v[2:3], 32
	v_cvt_f64_u32_e32 v[4:5], s0
	v_add_f64 v[2:3], v[2:3], v[4:5]
	s_mov_b32 s0, 0
	s_waitcnt lgkmcnt(0)
	v_add_f64 v[2:3], s[18:19], -v[2:3]
	s_brev_b32 s1, 8
	v_cmp_gt_f64_e32 vcc, s[0:1], v[2:3]
	s_and_b64 s[0:1], vcc, exec
	s_cselect_b32 s0, 0x100, 0
	v_ldexp_f64 v[2:3], v[2:3], s0
	v_rsq_f64_e32 v[4:5], v[2:3]
	s_cselect_b32 s0, 0xffffff80, 0
	v_mov_b32_e32 v1, 0x260
	v_cmp_class_f64_e32 vcc, v[2:3], v1
	v_mul_f64 v[6:7], v[2:3], v[4:5]
	v_mul_f64 v[4:5], v[4:5], 0.5
	v_fma_f64 v[8:9], -v[4:5], v[6:7], 0.5
	v_fmac_f64_e32 v[6:7], v[6:7], v[8:9]
	v_fma_f64 v[10:11], -v[6:7], v[6:7], v[2:3]
	v_fmac_f64_e32 v[4:5], v[4:5], v[8:9]
	v_fmac_f64_e32 v[6:7], v[10:11], v[4:5]
	v_fma_f64 v[8:9], -v[6:7], v[6:7], v[2:3]
	v_fmac_f64_e32 v[6:7], v[8:9], v[4:5]
	v_ldexp_f64 v[4:5], v[6:7], s0
	v_cndmask_b32_e32 v3, v5, v3, vcc
	v_cndmask_b32_e32 v2, v4, v2, vcc
	v_add_f64 v[2:3], s[16:17], -v[2:3]
	v_trunc_f64_e32 v[2:3], v[2:3]
	s_movk_i32 s0, 0xffe0
	v_ldexp_f64 v[4:5], v[2:3], s0
	v_floor_f64_e32 v[4:5], v[4:5]
	v_fmac_f64_e32 v[2:3], 0xc1f00000, v[4:5]
	v_cvt_u32_f64_e32 v1, v[2:3]
	v_cvt_i32_f64_e32 v2, v[4:5]
	v_mul_hi_u32 v4, s10, v1
	v_readfirstlane_b32 s16, v2
	v_mul_lo_u32 v2, s10, v2
	v_mul_lo_u32 v3, s11, v1
	v_add_u32_e32 v2, v4, v2
	v_add_u32_e32 v3, v2, v3
	v_mul_lo_u32 v2, s10, v1
	v_lshlrev_b64 v[2:3], 2, v[2:3]
	v_readfirstlane_b32 s15, v1
	v_lshl_add_u64 v[6:7], s[6:7], 0, v[2:3]
	s_lshl_b64 s[0:1], s[10:11], 2
	v_lshl_add_u64 v[4:5], v[6:7], 0, s[0:1]
	s_add_u32 s0, s15, 1
	s_addc_u32 s1, s16, 0
	s_add_u32 s17, s0, s2
	s_mul_hi_u32 s19, s8, s15
	s_mul_i32 s20, s8, s16
	s_addc_u32 s18, s1, 0
	s_mul_i32 s9, s9, s15
	s_add_i32 s19, s19, s20
	s_add_i32 s19, s19, s9
	s_mul_i32 s8, s8, s15
	s_sub_u32 s8, s17, s8
	s_mul_hi_u32 s17, s0, s15
	s_mul_i32 s16, s0, s16
	s_subb_u32 s9, s18, s19
	s_mul_i32 s1, s1, s15
	s_add_i32 s16, s17, s16
	s_add_i32 s16, s16, s1
	s_mul_i32 s0, s0, s15
	s_lshr_b32 s1, s16, 31
	s_add_u32 s0, s0, s1
	s_addc_u32 s1, s16, 0
	s_ashr_i64 s[0:1], s[0:1], 1
	s_add_u32 s0, s8, s0
	s_addc_u32 s1, s9, s1
	s_mul_i32 s1, s10, s1
	s_mul_hi_u32 s8, s10, s0
	s_add_i32 s1, s8, s1
	s_mul_i32 s8, s11, s0
	v_lshlrev_b32_e32 v10, 2, v0
	v_mov_b32_e32 v11, 0
	s_and_b32 s15, s14, 0xffff
	s_add_i32 s1, s1, s8
	s_mul_i32 s0, s10, s0
	v_lshl_add_u64 v[6:7], v[6:7], 0, v[10:11]
	s_lshl_b64 s[0:1], s[0:1], 2
	v_lshl_add_u64 v[8:9], s[6:7], 0, v[10:11]
	s_lshl_b32 s6, s15, 2
	s_mov_b32 s7, s3
	s_mov_b64 s[8:9], 0
	s_lshl_b32 s10, s15, 2
	s_mov_b32 s11, s3
	v_mov_b32_e32 v1, v11
.LBB19_2:                               ; =>This Inner Loop Header: Depth=1
	v_lshl_add_u64 v[12:13], v[8:9], 0, v[2:3]
	v_lshl_add_u64 v[10:11], v[8:9], 0, s[0:1]
	global_load_dword v14, v[12:13], off
	global_load_dword v15, v[10:11], off
	v_lshl_add_u64 v[6:7], v[6:7], 0, s[10:11]
	v_cmp_ge_u64_e32 vcc, v[6:7], v[4:5]
	v_lshl_add_u64 v[8:9], v[8:9], 0, s[6:7]
	s_or_b64 s[8:9], vcc, s[8:9]
	s_waitcnt vmcnt(0)
	v_sub_f32_e32 v10, v14, v15
	v_cmp_gt_f32_e64 s[16:17], |v10|, v1
	s_nop 1
	v_cndmask_b32_e64 v1, v1, |v10|, s[16:17]
	s_andn2_b64 exec, exec, s[8:9]
	s_cbranch_execnz .LBB19_2
; %bb.3:
	s_or_b64 exec, exec, s[8:9]
.LBB19_4:
	s_or_b64 exec, exec, s[12:13]
	v_mbcnt_lo_u32_b32 v2, -1, 0
	v_mbcnt_hi_u32_b32 v6, -1, v2
	v_mov_b32_e32 v2, 0x80
	v_lshl_or_b32 v2, v6, 2, v2
	ds_bpermute_b32 v3, v2, v1
	v_and_b32_e32 v9, 63, v6
	v_and_b32_e32 v8, 63, v0
	s_waitcnt lgkmcnt(0)
	s_barrier
	v_cmp_lt_f32_e32 vcc, v1, v3
	s_nop 1
	v_cndmask_b32_e32 v3, v1, v3, vcc
	v_cmp_gt_u32_e32 vcc, 48, v9
	s_nop 1
	v_cndmask_b32_e64 v1, 0, 16, vcc
	v_add_lshl_u32 v1, v1, v6, 2
	ds_bpermute_b32 v4, v1, v3
	s_waitcnt lgkmcnt(0)
	v_cmp_lt_f32_e32 vcc, v3, v4
	s_nop 1
	v_cndmask_b32_e32 v4, v3, v4, vcc
	v_cmp_gt_u32_e32 vcc, 56, v9
	s_nop 1
	v_cndmask_b32_e64 v3, 0, 8, vcc
	v_add_lshl_u32 v3, v3, v6, 2
	ds_bpermute_b32 v5, v3, v4
	s_waitcnt lgkmcnt(0)
	;; [unrolled: 9-line block ×4, first 2 shown]
	v_cmp_lt_f32_e32 vcc, v7, v10
	s_nop 1
	v_cndmask_b32_e32 v7, v7, v10, vcc
	v_cmp_ne_u32_e32 vcc, 63, v9
	s_nop 1
	v_addc_co_u32_e32 v6, vcc, 0, v6, vcc
	v_lshlrev_b32_e32 v6, 2, v6
	ds_bpermute_b32 v9, v6, v7
	v_cmp_eq_u32_e32 vcc, 0, v8
	s_and_saveexec_b64 s[0:1], vcc
	s_cbranch_execz .LBB19_6
; %bb.5:
	s_waitcnt lgkmcnt(0)
	v_cmp_lt_f32_e32 vcc, v7, v9
	s_nop 1
	v_cndmask_b32_e32 v7, v7, v9, vcc
	v_lshrrev_b32_e32 v9, 4, v0
	ds_write_b32 v9, v7
.LBB19_6:
	s_or_b64 exec, exec, s[0:1]
	s_and_b32 s0, 0xffff, s14
	s_lshr_b32 s0, s0, 6
	v_cmp_gt_u32_e32 vcc, s0, v0
	v_mov_b32_e32 v7, 0
	s_waitcnt lgkmcnt(0)
	s_barrier
	s_and_saveexec_b64 s[0:1], vcc
	s_cbranch_execnz .LBB19_10
; %bb.7:
	s_or_b64 exec, exec, s[0:1]
	v_cmp_gt_u32_e32 vcc, 64, v0
	s_and_saveexec_b64 s[0:1], vcc
	s_cbranch_execnz .LBB19_11
.LBB19_8:
	s_or_b64 exec, exec, s[0:1]
	v_cmp_eq_u32_e32 vcc, 0, v0
	s_and_saveexec_b64 s[0:1], vcc
	s_cbranch_execnz .LBB19_12
.LBB19_9:
	s_endpgm
.LBB19_10:
	v_lshlrev_b32_e32 v7, 2, v8
	ds_read_b32 v7, v7
	s_or_b64 exec, exec, s[0:1]
	v_cmp_gt_u32_e32 vcc, 64, v0
	s_and_saveexec_b64 s[0:1], vcc
	s_cbranch_execz .LBB19_8
.LBB19_11:
	s_waitcnt lgkmcnt(0)
	ds_bpermute_b32 v2, v2, v7
	s_waitcnt lgkmcnt(0)
	v_cmp_lt_f32_e32 vcc, v7, v2
	s_nop 1
	v_cndmask_b32_e32 v2, v7, v2, vcc
	ds_bpermute_b32 v1, v1, v2
	s_waitcnt lgkmcnt(0)
	v_cmp_lt_f32_e32 vcc, v2, v1
	s_nop 1
	v_cndmask_b32_e32 v1, v2, v1, vcc
	ds_bpermute_b32 v2, v3, v1
	s_waitcnt lgkmcnt(0)
	v_cmp_lt_f32_e32 vcc, v1, v2
	s_nop 1
	v_cndmask_b32_e32 v1, v1, v2, vcc
	ds_bpermute_b32 v2, v4, v1
	s_waitcnt lgkmcnt(0)
	v_cmp_lt_f32_e32 vcc, v1, v2
	s_nop 1
	v_cndmask_b32_e32 v1, v1, v2, vcc
	ds_bpermute_b32 v2, v5, v1
	s_waitcnt lgkmcnt(0)
	v_cmp_lt_f32_e32 vcc, v1, v2
	s_nop 1
	v_cndmask_b32_e32 v1, v1, v2, vcc
	ds_bpermute_b32 v2, v6, v1
	s_waitcnt lgkmcnt(0)
	v_cmp_lt_f32_e32 vcc, v1, v2
	s_nop 1
	v_cndmask_b32_e32 v7, v1, v2, vcc
	s_or_b64 exec, exec, s[0:1]
	v_cmp_eq_u32_e32 vcc, 0, v0
	s_and_saveexec_b64 s[0:1], vcc
	s_cbranch_execz .LBB19_9
.LBB19_12:
	s_lshl_b64 s[0:1], s[2:3], 2
	s_add_u32 s0, s4, s0
	s_addc_u32 s1, s5, s1
	v_mov_b32_e32 v0, 0
	s_waitcnt lgkmcnt(0)
	global_store_dword v0, v7, s[0:1]
	s_endpgm
	.section	.rodata,"a",@progbits
	.p2align	6, 0x0
	.amdhsa_kernel _ZN2at6native12_GLOBAL__N_122pdist_kernel_cuda_implIfNS1_5distsIfE3infEEEvPT_PKS6_llS6_dd
		.amdhsa_group_segment_fixed_size 1024
		.amdhsa_private_segment_fixed_size 0
		.amdhsa_kernarg_size 312
		.amdhsa_user_sgpr_count 2
		.amdhsa_user_sgpr_dispatch_ptr 0
		.amdhsa_user_sgpr_queue_ptr 0
		.amdhsa_user_sgpr_kernarg_segment_ptr 1
		.amdhsa_user_sgpr_dispatch_id 0
		.amdhsa_user_sgpr_kernarg_preload_length 0
		.amdhsa_user_sgpr_kernarg_preload_offset 0
		.amdhsa_user_sgpr_private_segment_size 0
		.amdhsa_uses_dynamic_stack 0
		.amdhsa_enable_private_segment 0
		.amdhsa_system_sgpr_workgroup_id_x 1
		.amdhsa_system_sgpr_workgroup_id_y 0
		.amdhsa_system_sgpr_workgroup_id_z 0
		.amdhsa_system_sgpr_workgroup_info 0
		.amdhsa_system_vgpr_workitem_id 0
		.amdhsa_next_free_vgpr 16
		.amdhsa_next_free_sgpr 21
		.amdhsa_accum_offset 16
		.amdhsa_reserve_vcc 1
		.amdhsa_float_round_mode_32 0
		.amdhsa_float_round_mode_16_64 0
		.amdhsa_float_denorm_mode_32 3
		.amdhsa_float_denorm_mode_16_64 3
		.amdhsa_dx10_clamp 1
		.amdhsa_ieee_mode 1
		.amdhsa_fp16_overflow 0
		.amdhsa_tg_split 0
		.amdhsa_exception_fp_ieee_invalid_op 0
		.amdhsa_exception_fp_denorm_src 0
		.amdhsa_exception_fp_ieee_div_zero 0
		.amdhsa_exception_fp_ieee_overflow 0
		.amdhsa_exception_fp_ieee_underflow 0
		.amdhsa_exception_fp_ieee_inexact 0
		.amdhsa_exception_int_div_zero 0
	.end_amdhsa_kernel
	.section	.text._ZN2at6native12_GLOBAL__N_122pdist_kernel_cuda_implIfNS1_5distsIfE3infEEEvPT_PKS6_llS6_dd,"axG",@progbits,_ZN2at6native12_GLOBAL__N_122pdist_kernel_cuda_implIfNS1_5distsIfE3infEEEvPT_PKS6_llS6_dd,comdat
.Lfunc_end19:
	.size	_ZN2at6native12_GLOBAL__N_122pdist_kernel_cuda_implIfNS1_5distsIfE3infEEEvPT_PKS6_llS6_dd, .Lfunc_end19-_ZN2at6native12_GLOBAL__N_122pdist_kernel_cuda_implIfNS1_5distsIfE3infEEEvPT_PKS6_llS6_dd
                                        ; -- End function
	.set _ZN2at6native12_GLOBAL__N_122pdist_kernel_cuda_implIfNS1_5distsIfE3infEEEvPT_PKS6_llS6_dd.num_vgpr, 16
	.set _ZN2at6native12_GLOBAL__N_122pdist_kernel_cuda_implIfNS1_5distsIfE3infEEEvPT_PKS6_llS6_dd.num_agpr, 0
	.set _ZN2at6native12_GLOBAL__N_122pdist_kernel_cuda_implIfNS1_5distsIfE3infEEEvPT_PKS6_llS6_dd.numbered_sgpr, 21
	.set _ZN2at6native12_GLOBAL__N_122pdist_kernel_cuda_implIfNS1_5distsIfE3infEEEvPT_PKS6_llS6_dd.num_named_barrier, 0
	.set _ZN2at6native12_GLOBAL__N_122pdist_kernel_cuda_implIfNS1_5distsIfE3infEEEvPT_PKS6_llS6_dd.private_seg_size, 0
	.set _ZN2at6native12_GLOBAL__N_122pdist_kernel_cuda_implIfNS1_5distsIfE3infEEEvPT_PKS6_llS6_dd.uses_vcc, 1
	.set _ZN2at6native12_GLOBAL__N_122pdist_kernel_cuda_implIfNS1_5distsIfE3infEEEvPT_PKS6_llS6_dd.uses_flat_scratch, 0
	.set _ZN2at6native12_GLOBAL__N_122pdist_kernel_cuda_implIfNS1_5distsIfE3infEEEvPT_PKS6_llS6_dd.has_dyn_sized_stack, 0
	.set _ZN2at6native12_GLOBAL__N_122pdist_kernel_cuda_implIfNS1_5distsIfE3infEEEvPT_PKS6_llS6_dd.has_recursion, 0
	.set _ZN2at6native12_GLOBAL__N_122pdist_kernel_cuda_implIfNS1_5distsIfE3infEEEvPT_PKS6_llS6_dd.has_indirect_call, 0
	.section	.AMDGPU.csdata,"",@progbits
; Kernel info:
; codeLenInByte = 1240
; TotalNumSgprs: 27
; NumVgprs: 16
; NumAgprs: 0
; TotalNumVgprs: 16
; ScratchSize: 0
; MemoryBound: 0
; FloatMode: 240
; IeeeMode: 1
; LDSByteSize: 1024 bytes/workgroup (compile time only)
; SGPRBlocks: 3
; VGPRBlocks: 1
; NumSGPRsForWavesPerEU: 27
; NumVGPRsForWavesPerEU: 16
; AccumOffset: 16
; Occupancy: 8
; WaveLimiterHint : 0
; COMPUTE_PGM_RSRC2:SCRATCH_EN: 0
; COMPUTE_PGM_RSRC2:USER_SGPR: 2
; COMPUTE_PGM_RSRC2:TRAP_HANDLER: 0
; COMPUTE_PGM_RSRC2:TGID_X_EN: 1
; COMPUTE_PGM_RSRC2:TGID_Y_EN: 0
; COMPUTE_PGM_RSRC2:TGID_Z_EN: 0
; COMPUTE_PGM_RSRC2:TIDIG_COMP_CNT: 0
; COMPUTE_PGM_RSRC3_GFX90A:ACCUM_OFFSET: 3
; COMPUTE_PGM_RSRC3_GFX90A:TG_SPLIT: 0
	.section	.text._ZN2at6native12_GLOBAL__N_131pdist_backward_kernel_cuda_implIdNS1_5distsIdE1pEEEvPT_PKS6_S9_S9_llllS6_dd,"axG",@progbits,_ZN2at6native12_GLOBAL__N_131pdist_backward_kernel_cuda_implIdNS1_5distsIdE1pEEEvPT_PKS6_S9_S9_llllS6_dd,comdat
	.globl	_ZN2at6native12_GLOBAL__N_131pdist_backward_kernel_cuda_implIdNS1_5distsIdE1pEEEvPT_PKS6_S9_S9_llllS6_dd ; -- Begin function _ZN2at6native12_GLOBAL__N_131pdist_backward_kernel_cuda_implIdNS1_5distsIdE1pEEEvPT_PKS6_S9_S9_llllS6_dd
	.p2align	8
	.type	_ZN2at6native12_GLOBAL__N_131pdist_backward_kernel_cuda_implIdNS1_5distsIdE1pEEEvPT_PKS6_S9_S9_llllS6_dd,@function
_ZN2at6native12_GLOBAL__N_131pdist_backward_kernel_cuda_implIdNS1_5distsIdE1pEEEvPT_PKS6_S9_S9_llllS6_dd: ; @_ZN2at6native12_GLOBAL__N_131pdist_backward_kernel_cuda_implIdNS1_5distsIdE1pEEEvPT_PKS6_S9_S9_llllS6_dd
; %bb.0:
	s_load_dwordx16 s[8:23], s[0:1], 0x0
	s_load_dword s6, s[0:1], 0x64
	s_add_u32 s4, s0, 0x58
	s_addc_u32 s5, s1, 0
	v_and_b32_e32 v2, 0x3ff, v0
	v_mov_b32_e32 v3, 0
	s_waitcnt lgkmcnt(0)
	s_and_b32 s7, s6, 0xffff
	v_mov_b32_e32 v1, s2
	v_mad_u64_u32 v[2:3], s[24:25], s7, v1, v[2:3]
	v_cmp_gt_i64_e32 vcc, s[22:23], v[2:3]
	s_and_saveexec_b64 s[22:23], vcc
	s_cbranch_execz .LBB20_6
; %bb.1:
	s_lshr_b32 s44, s6, 16
	s_mul_i32 s3, s3, s44
	v_bfe_u32 v0, v0, 10, 10
	v_add_u32_e32 v40, s3, v0
	v_ashrrev_i32_e32 v41, 31, v40
	v_cmp_gt_i64_e32 vcc, s[20:21], v[40:41]
	s_and_b64 exec, exec, vcc
	s_cbranch_execz .LBB20_6
; %bb.2:
	v_mov_b32_e32 v6, s14
	v_mov_b32_e32 v7, s15
	v_lshl_add_u64 v[6:7], v[2:3], 3, v[6:7]
	s_load_dwordx4 s[24:27], s[0:1], 0x40
	s_load_dwordx2 s[2:3], s[0:1], 0x50
	global_load_dwordx2 v[6:7], v[6:7], off
	v_lshlrev_b64 v[0:1], 1, v[2:3]
	v_cvt_f64_u32_e32 v[4:5], v1
	v_ldexp_f64 v[4:5], v[4:5], 32
	v_cvt_f64_u32_e32 v[0:1], v0
	v_add_f64 v[0:1], v[4:5], v[0:1]
	s_mov_b32 s0, 0
	s_waitcnt lgkmcnt(0)
	v_add_f64 v[0:1], s[2:3], -v[0:1]
	s_brev_b32 s1, 8
	v_mov_b32_e32 v4, 0x100
	v_cmp_gt_f64_e32 vcc, s[0:1], v[0:1]
	s_movk_i32 s0, 0xffe0
	v_mov_b32_e32 v8, s10
	v_cndmask_b32_e32 v4, 0, v4, vcc
	v_ldexp_f64 v[0:1], v[0:1], v4
	v_rsq_f64_e32 v[4:5], v[0:1]
	v_mov_b32_e32 v9, s11
	v_mov_b32_e32 v70, 0x3ff00000
	s_mov_b32 s6, 0x55555555
	v_mul_f64 v[10:11], v[0:1], v[4:5]
	v_mul_f64 v[4:5], v[4:5], 0.5
	v_fma_f64 v[12:13], -v[4:5], v[10:11], 0.5
	v_fmac_f64_e32 v[10:11], v[10:11], v[12:13]
	v_fma_f64 v[14:15], -v[10:11], v[10:11], v[0:1]
	v_fmac_f64_e32 v[4:5], v[4:5], v[12:13]
	v_fmac_f64_e32 v[10:11], v[14:15], v[4:5]
	v_fma_f64 v[12:13], -v[10:11], v[10:11], v[0:1]
	v_fmac_f64_e32 v[10:11], v[12:13], v[4:5]
	v_mov_b32_e32 v4, 0xffffff80
	v_cndmask_b32_e32 v4, 0, v4, vcc
	v_ldexp_f64 v[4:5], v[10:11], v4
	v_mov_b32_e32 v10, 0x260
	v_cmp_class_f64_e32 vcc, v[0:1], v10
	v_mul_lo_u32 v10, v3, s16
	v_mul_lo_u32 v11, v2, s17
	v_cndmask_b32_e32 v1, v5, v1, vcc
	v_cndmask_b32_e32 v0, v4, v0, vcc
	v_add_f64 v[0:1], s[26:27], -v[0:1]
	v_trunc_f64_e32 v[0:1], v[0:1]
	v_ldexp_f64 v[4:5], v[0:1], s0
	v_floor_f64_e32 v[4:5], v[4:5]
	v_fmac_f64_e32 v[0:1], 0xc1f00000, v[4:5]
	v_cvt_u32_f64_e32 v0, v[0:1]
	v_cvt_i32_f64_e32 v1, v[4:5]
	v_mad_u64_u32 v[4:5], s[0:1], v2, s16, 0
	v_add3_u32 v5, v5, v11, v10
	v_lshl_add_u64 v[32:33], v[4:5], 3, v[8:9]
	v_mul_lo_u32 v4, s21, v0
	v_mad_u64_u32 v[36:37], s[0:1], s20, v0, 0
	v_mul_lo_u32 v5, s20, v1
	v_add3_u32 v37, v37, v5, v4
	v_lshl_add_u64 v[4:5], v[0:1], 0, 1
	v_mul_lo_u32 v10, v5, v0
	v_mul_hi_u32 v8, v4, v0
	v_mul_lo_u32 v11, v4, v1
	v_add3_u32 v8, v8, v11, v10
	v_lshrrev_b32_e32 v8, 31, v8
	v_mov_b32_e32 v9, 0
	v_mad_u64_u32 v[8:9], s[0:1], v4, v0, v[8:9]
	v_add3_u32 v9, v10, v9, v11
	v_mul_lo_u32 v12, s19, v0
	v_mad_u64_u32 v[10:11], s[0:1], s18, v0, 0
	v_mul_lo_u32 v13, s18, v1
	v_add3_u32 v11, v11, v13, v12
	v_sub_co_u32_e32 v2, vcc, v2, v10
	v_ashrrev_i64 v[8:9], 1, v[8:9]
	s_nop 0
	v_subb_co_u32_e32 v3, vcc, v3, v11, vcc
	v_lshl_add_u64 v[2:3], v[8:9], 0, v[2:3]
	v_lshl_add_u64 v[38:39], v[4:5], 0, v[2:3]
	v_mov_b32_e32 v4, s19
	v_sub_co_u32_e32 v42, vcc, s18, v0
	v_mul_lo_u32 v3, v3, s18
	s_nop 0
	v_subb_co_u32_e32 v43, vcc, v4, v1, vcc
	v_mul_lo_u32 v4, v2, s19
	v_mad_u64_u32 v[0:1], s[0:1], v2, s18, v[0:1]
	v_add3_u32 v1, v3, v1, v4
	v_mul_lo_u32 v1, v1, s20
	v_mul_lo_u32 v2, v0, s21
	v_mad_u64_u32 v[44:45], s[0:1], v0, s20, 0
	v_add3_u32 v45, v45, v2, v1
	v_mul_lo_u32 v0, v39, s20
	v_mul_lo_u32 v1, v38, s21
	v_mad_u64_u32 v[46:47], s[0:1], v38, s20, 0
	v_add3_u32 v47, v47, v1, v0
	v_add_f64 v[0:1], s[24:25], -1.0
	s_waitcnt vmcnt(0)
	v_cmp_neq_f64_e32 vcc, 1.0, v[6:7]
	s_mov_b32 s7, 0x3fe55555
	v_cmp_neq_f64_e64 s[0:1], 0, v[6:7]
	v_cndmask_b32_e32 v51, v70, v1, vcc
	v_cndmask_b32_e32 v50, 0, v0, vcc
	v_cmp_neq_f64_e32 vcc, 0, v[50:51]
	s_mov_b32 s10, 0x4222de17
	s_mov_b32 s11, 0x3fbdee67
	v_cndmask_b32_e32 v53, v70, v7, vcc
	v_cndmask_b32_e32 v52, 0, v6, vcc
	v_frexp_mant_f64_e64 v[0:1], |v[52:53]|
	v_cmp_gt_f64_e32 vcc, s[6:7], v[0:1]
	v_frexp_exp_i32_f64_e32 v2, v[52:53]
	s_mov_b32 s14, 0xfefa39ef
	v_cndmask_b32_e64 v3, 0, 1, vcc
	v_ldexp_f64 v[0:1], v[0:1], v3
	v_subbrev_co_u32_e32 v28, vcc, 0, v2, vcc
	v_add_f64 v[2:3], v[0:1], 1.0
	v_rcp_f64_e32 v[4:5], v[2:3]
	v_add_f64 v[8:9], v[2:3], -1.0
	v_add_f64 v[6:7], v[0:1], -1.0
	v_add_f64 v[0:1], v[0:1], -v[8:9]
	v_fma_f64 v[8:9], -v[2:3], v[4:5], 1.0
	v_fmac_f64_e32 v[4:5], v[8:9], v[4:5]
	v_fma_f64 v[8:9], -v[2:3], v[4:5], 1.0
	v_fmac_f64_e32 v[4:5], v[8:9], v[4:5]
	v_mul_f64 v[8:9], v[6:7], v[4:5]
	v_mul_f64 v[10:11], v[2:3], v[8:9]
	v_fma_f64 v[2:3], v[8:9], v[2:3], -v[10:11]
	v_fmac_f64_e32 v[2:3], v[8:9], v[0:1]
	v_add_f64 v[0:1], v[10:11], v[2:3]
	v_add_f64 v[12:13], v[6:7], -v[0:1]
	v_add_f64 v[10:11], v[0:1], -v[10:11]
	;; [unrolled: 1-line block ×5, first 2 shown]
	v_add_f64 v[0:1], v[2:3], v[0:1]
	v_add_f64 v[0:1], v[12:13], v[0:1]
	v_mul_f64 v[0:1], v[4:5], v[0:1]
	v_add_f64 v[16:17], v[8:9], v[0:1]
	v_add_f64 v[2:3], v[16:17], -v[8:9]
	v_add_f64 v[18:19], v[0:1], -v[2:3]
	v_mul_f64 v[0:1], v[16:17], v[16:17]
	v_fma_f64 v[2:3], v[16:17], v[16:17], -v[0:1]
	v_add_f64 v[4:5], v[18:19], v[18:19]
	v_fmac_f64_e32 v[2:3], v[16:17], v[4:5]
	v_add_f64 v[20:21], v[0:1], v[2:3]
	v_add_f64 v[0:1], v[20:21], -v[0:1]
	v_add_f64 v[22:23], v[2:3], -v[0:1]
	v_mov_b32_e32 v0, 0x968915a9
	v_mov_b32_e32 v1, 0x3fba6564
	v_mov_b64_e32 v[4:5], v[0:1]
	v_mov_b32_e32 v2, 0x3abe935a
	v_mov_b32_e32 v3, 0x3fbe25e4
	v_fmac_f64_e32 v[4:5], s[10:11], v[20:21]
	v_mov_b64_e32 v[6:7], v[2:3]
	v_fmac_f64_e32 v[6:7], v[20:21], v[4:5]
	v_mov_b32_e32 v4, 0x47e6c9c2
	v_mov_b32_e32 v5, 0x3fc110ef
	v_mov_b64_e32 v[8:9], v[4:5]
	v_fmac_f64_e32 v[8:9], v[20:21], v[6:7]
	v_mov_b32_e32 v6, 0xcfa74449
	v_mov_b32_e32 v7, 0x3fc3b13b
	;; [unrolled: 4-line block ×6, first 2 shown]
	v_mov_b64_e32 v[26:27], v[14:15]
	v_fmac_f64_e32 v[26:27], v[20:21], v[24:25]
	v_cvt_f64_i32_e32 v[24:25], v28
	s_mov_b32 s15, 0x3fe62e42
	v_mul_f64 v[28:29], v[24:25], s[14:15]
	s_mov_b32 s16, 0x3b39803f
	v_fma_f64 v[30:31], v[24:25], s[14:15], -v[28:29]
	s_mov_b32 s17, 0x3c7abc9e
	v_mul_f64 v[48:49], v[16:17], v[20:21]
	v_fmac_f64_e32 v[30:31], s[16:17], v[24:25]
	v_fma_f64 v[54:55], v[20:21], v[16:17], -v[48:49]
	v_add_f64 v[24:25], v[28:29], v[30:31]
	v_fmac_f64_e32 v[54:55], v[20:21], v[18:19]
	v_add_f64 v[28:29], v[24:25], -v[28:29]
	v_fmac_f64_e32 v[54:55], v[22:23], v[16:17]
	v_add_f64 v[28:29], v[30:31], -v[28:29]
	v_ldexp_f64 v[30:31], v[16:17], 1
	v_add_f64 v[16:17], v[48:49], v[54:55]
	v_ldexp_f64 v[34:35], v[18:19], 1
	v_add_f64 v[18:19], v[16:17], -v[48:49]
	v_mul_f64 v[48:49], v[20:21], v[26:27]
	v_fma_f64 v[20:21], v[20:21], v[26:27], -v[48:49]
	v_fmac_f64_e32 v[20:21], v[22:23], v[26:27]
	v_add_f64 v[22:23], v[48:49], v[20:21]
	v_add_f64 v[26:27], v[22:23], -v[48:49]
	v_add_f64 v[20:21], v[20:21], -v[26:27]
	v_add_f64 v[26:27], v[22:23], s[6:7]
	s_mov_b32 s23, 0xbfe55555
	s_mov_b32 s22, s6
	s_mov_b32 s26, 0xd5df274d
	global_load_dwordx2 v[32:33], v[32:33], off
	v_add_f64 v[48:49], v[26:27], s[22:23]
	s_mov_b32 s27, 0x3c8543b0
	v_add_f64 v[22:23], v[22:23], -v[48:49]
	v_add_f64 v[20:21], v[20:21], s[26:27]
	v_add_f64 v[20:21], v[20:21], v[22:23]
	;; [unrolled: 1-line block ×3, first 2 shown]
	v_add_f64 v[26:27], v[26:27], -v[22:23]
	v_add_f64 v[20:21], v[20:21], v[26:27]
	v_mul_f64 v[26:27], v[16:17], v[22:23]
	v_fma_f64 v[48:49], v[16:17], v[22:23], -v[26:27]
	v_add_f64 v[18:19], v[54:55], -v[18:19]
	v_fmac_f64_e32 v[48:49], v[16:17], v[20:21]
	v_fmac_f64_e32 v[48:49], v[18:19], v[22:23]
	v_add_f64 v[16:17], v[26:27], v[48:49]
	v_add_f64 v[18:19], v[16:17], -v[26:27]
	v_add_f64 v[20:21], v[30:31], v[16:17]
	v_add_f64 v[18:19], v[48:49], -v[18:19]
	v_add_f64 v[22:23], v[20:21], -v[30:31]
	v_add_f64 v[16:17], v[16:17], -v[22:23]
	v_add_f64 v[18:19], v[34:35], v[18:19]
	v_add_f64 v[16:17], v[18:19], v[16:17]
	;; [unrolled: 1-line block ×3, first 2 shown]
	v_add_f64 v[20:21], v[18:19], -v[20:21]
	v_add_f64 v[16:17], v[16:17], -v[20:21]
	v_add_f64 v[20:21], v[24:25], v[18:19]
	v_add_f64 v[22:23], v[20:21], -v[24:25]
	v_add_f64 v[26:27], v[20:21], -v[22:23]
	;; [unrolled: 1-line block ×4, first 2 shown]
	v_add_f64 v[18:19], v[18:19], v[24:25]
	v_add_f64 v[22:23], v[28:29], v[16:17]
	v_add_f64 v[24:25], v[22:23], -v[28:29]
	v_add_f64 v[18:19], v[22:23], v[18:19]
	v_add_f64 v[26:27], v[22:23], -v[24:25]
	;; [unrolled: 2-line block ×3, first 2 shown]
	v_add_f64 v[16:17], v[16:17], -v[24:25]
	v_add_f64 v[20:21], v[22:23], -v[20:21]
	v_add_f64 v[16:17], v[16:17], v[26:27]
	v_add_f64 v[18:19], v[18:19], -v[20:21]
	v_add_f64 v[16:17], v[16:17], v[18:19]
	v_add_f64 v[18:19], v[22:23], v[16:17]
	v_add_f64 v[20:21], v[18:19], -v[22:23]
	v_add_f64 v[16:17], v[16:17], -v[20:21]
	v_mul_f64 v[20:21], v[50:51], v[18:19]
	v_fma_f64 v[18:19], v[50:51], v[18:19], -v[20:21]
	v_fmac_f64_e32 v[18:19], v[50:51], v[16:17]
	s_movk_i32 s33, 0x204
	v_add_f64 v[16:17], v[20:21], v[18:19]
	v_cmp_class_f64_e64 vcc, v[20:21], s33
	s_mov_b32 s30, 0x652b82fe
	s_mov_b32 s31, 0x3ff71547
	v_cndmask_b32_e32 v49, v17, v21, vcc
	v_cndmask_b32_e32 v48, v16, v20, vcc
	v_add_f64 v[22:23], v[16:17], -v[20:21]
	s_mov_b32 s28, 0
	v_mul_f64 v[16:17], v[48:49], s[30:31]
	s_mov_b32 s29, 0x7ff00000
	v_rndne_f64_e32 v[56:57], v[16:17]
	s_mov_b32 s35, 0xbfe62e42
	s_mov_b32 s34, s14
	v_add_f64 v[18:19], v[18:19], -v[22:23]
	v_cmp_neq_f64_e64 vcc, |v[48:49]|, s[28:29]
	v_fma_f64 v[58:59], s[34:35], v[56:57], v[48:49]
	s_mov_b32 s37, 0xbc7abc9e
	s_mov_b32 s36, s16
	v_mov_b32_e32 v16, 0xfca7ab0c
	v_mov_b32_e32 v17, 0x3e928af3
	s_mov_b32 s38, 0x6a5dcb37
	v_cndmask_b32_e32 v55, 0, v19, vcc
	v_cndmask_b32_e32 v54, 0, v18, vcc
	v_fmac_f64_e32 v[58:59], s[36:37], v[56:57]
	s_mov_b32 s39, 0x3e5ade15
	v_mov_b64_e32 v[20:21], v[16:17]
	v_mov_b32_e32 v18, 0x623fde64
	v_mov_b32_e32 v19, 0x3ec71dee
	v_fmac_f64_e32 v[20:21], s[38:39], v[58:59]
	v_mov_b64_e32 v[22:23], v[18:19]
	v_fmac_f64_e32 v[22:23], v[58:59], v[20:21]
	v_mov_b32_e32 v20, 0x7c89e6b0
	v_mov_b32_e32 v21, 0x3efa0199
	v_mov_b64_e32 v[24:25], v[20:21]
	v_fmac_f64_e32 v[24:25], v[58:59], v[22:23]
	v_mov_b32_e32 v22, 0x14761f6e
	v_mov_b32_e32 v23, 0x3f2a01a0
	;; [unrolled: 4-line block ×3, first 2 shown]
	v_mov_b64_e32 v[28:29], v[24:25]
	v_fmac_f64_e32 v[28:29], v[58:59], v[26:27]
	v_mul_f64 v[26:27], v[50:51], 0.5
	v_trunc_f64_e32 v[30:31], v[26:27]
	v_cmp_neq_f64_e32 vcc, v[30:31], v[26:27]
	v_mov_b32_e32 v26, 0x11122322
	v_mov_b32_e32 v27, 0x3f811111
	v_mov_b64_e32 v[30:31], v[26:27]
	v_fmac_f64_e32 v[30:31], v[58:59], v[28:29]
	v_mov_b32_e32 v28, 0x555502a1
	v_mov_b32_e32 v29, 0x3fa55555
	v_mov_b64_e32 v[34:35], v[28:29]
	v_fmac_f64_e32 v[34:35], v[58:59], v[30:31]
	;; [unrolled: 4-line block ×4, first 2 shown]
	v_fma_f64 v[60:61], v[58:59], v[62:63], 1.0
	v_fma_f64 v[58:59], v[58:59], v[60:61], 1.0
	v_cvt_i32_f64_e32 v56, v[56:57]
	s_mov_b32 s40, 0
	s_mov_b32 s42, 0
	v_lshl_add_u64 v[42:43], v[42:43], 0, -2
	v_ldexp_f64 v[56:57], v[58:59], v56
	s_mov_b32 s41, 0x40900000
	s_mov_b32 s43, 0xc090cc00
	s_load_dword s22, s[4:5], 0x4
	v_mad_u64_u32 v[58:59], s[4:5], v42, s18, v[38:39]
	v_mov_b32_e32 v71, 0x7ff00000
	v_cmp_nlt_f64_e64 s[2:3], s[40:41], v[48:49]
	v_cmp_ngt_f64_e64 s[4:5], s[42:43], v[48:49]
	v_mul_lo_u32 v60, v42, s19
	v_cndmask_b32_e64 v57, v71, v57, s[2:3]
	s_and_b64 s[2:3], s[4:5], s[2:3]
	v_mul_lo_u32 v61, v43, s18
	v_cndmask_b32_e64 v43, 0, v57, s[4:5]
	v_cndmask_b32_e64 v42, 0, v56, s[2:3]
	v_mov_b64_e32 v[48:49], v[42:43]
	v_fmac_f64_e32 v[48:49], v[48:49], v[54:55]
	v_cmp_class_f64_e64 s[2:3], v[42:43], s33
	s_brev_b32 s19, -2
	v_mov_b32_e32 v72, 0x7ff80000
	v_cndmask_b32_e64 v48, v48, v42, s[2:3]
	v_cndmask_b32_e64 v49, v49, v43, s[2:3]
	v_trunc_f64_e32 v[42:43], v[50:51]
	v_cmp_eq_f64_e64 s[2:3], v[42:43], v[50:51]
	s_and_b64 vcc, s[2:3], vcc
	v_cndmask_b32_e32 v42, v70, v53, vcc
	v_bfi_b32 v42, s19, v49, v42
	v_cndmask_b32_e64 v43, v72, v42, s[2:3]
	v_cndmask_b32_e64 v49, 0, v48, s[2:3]
	v_cmp_gt_f64_e64 s[2:3], 0, v[52:53]
	v_cmp_lt_f64_e64 s[4:5], |v[52:53]|, 1.0
	v_add3_u32 v54, v61, v59, v60
	v_cndmask_b32_e64 v48, v48, v49, s[2:3]
	v_cndmask_b32_e64 v42, v42, v43, s[2:3]
	v_cmp_neq_f64_e64 s[2:3], v[50:51], |v[50:51]|
	s_xor_b64 s[2:3], s[2:3], s[4:5]
	v_cmp_gt_f64_e64 s[4:5], 0, v[50:51]
	v_cndmask_b32_e64 v43, v71, 0, s[2:3]
	v_cmp_neq_f64_e64 s[2:3], |v[52:53]|, 1.0
	v_cndmask_b32_e32 v49, 0, v53, vcc
	v_cmp_class_f64_e64 vcc, v[52:53], s33
	v_cndmask_b32_e64 v43, v70, v43, s[2:3]
	v_cmp_class_f64_e64 s[2:3], v[50:51], s33
	s_waitcnt lgkmcnt(0)
	s_mul_i32 s18, s22, s44
	v_mul_lo_u32 v54, s20, v54
	v_cndmask_b32_e64 v42, v42, v43, s[2:3]
	v_cndmask_b32_e64 v43, v71, 0, s[4:5]
	v_bfi_b32 v43, s19, v43, v49
	v_cndmask_b32_e32 v55, v42, v43, vcc
	s_or_b64 s[2:3], vcc, s[2:3]
	v_cmp_o_f64_e32 vcc, v[52:53], v[50:51]
	v_cndmask_b32_e64 v56, v48, 0, s[2:3]
	v_mad_u64_u32 v[52:53], s[2:3], s20, v58, 0
	v_cndmask_b32_e32 v51, v72, v55, vcc
	v_mul_lo_u32 v55, s21, v58
	v_lshl_add_u64 v[36:37], v[36:37], 3, s[12:13]
	v_lshlrev_b64 v[40:41], 3, v[40:41]
	s_ashr_i32 s19, s18, 31
	v_add3_u32 v53, v53, v54, v55
	v_lshl_add_u64 v[38:39], s[20:21], 3, v[36:37]
	v_lshl_add_u64 v[42:43], v[36:37], 0, v[40:41]
	;; [unrolled: 1-line block ×4, first 2 shown]
	s_mov_b64 s[12:13], 0
	v_add_f64 v[48:49], s[24:25], -2.0
	v_cndmask_b32_e32 v50, 0, v56, vcc
	v_lshl_add_u64 v[52:53], v[52:53], 3, s[8:9]
	s_lshl_b64 s[8:9], s[18:19], 3
	s_branch .LBB20_4
.LBB20_3:                               ;   in Loop: Header=BB20_4 Depth=1
	s_or_b64 exec, exec, s[20:21]
	v_lshl_add_u64 v[42:43], s[18:19], 3, v[42:43]
	v_lshl_add_u64 v[58:59], v[44:45], 0, v[40:41]
	v_cmp_ge_u64_e32 vcc, v[42:43], v[38:39]
	v_lshl_add_u64 v[56:57], v[52:53], 0, v[40:41]
	global_store_dwordx2 v[58:59], v[54:55], off
	v_xor_b32_e32 v55, 0x80000000, v55
	s_or_b64 s[12:13], vcc, s[12:13]
	v_lshl_add_u64 v[40:41], v[40:41], 0, s[8:9]
	global_store_dwordx2 v[56:57], v[54:55], off
	s_andn2_b64 exec, exec, s[12:13]
	s_cbranch_execz .LBB20_6
.LBB20_4:                               ; =>This Inner Loop Header: Depth=1
	v_mov_b64_e32 v[54:55], 0
	s_and_saveexec_b64 s[20:21], s[0:1]
	s_cbranch_execz .LBB20_3
; %bb.5:                                ;   in Loop: Header=BB20_4 Depth=1
	v_lshl_add_u64 v[54:55], v[46:47], 0, v[40:41]
	v_lshl_add_u64 v[56:57], v[36:37], 0, v[40:41]
	global_load_dwordx2 v[56:57], v[56:57], off
	s_nop 0
	global_load_dwordx2 v[54:55], v[54:55], off
	v_mov_b64_e32 v[64:65], v[0:1]
	s_mov_b32 s22, s6
	s_mov_b32 s34, s14
	;; [unrolled: 1-line block ×3, first 2 shown]
	s_waitcnt vmcnt(0)
	v_add_f64 v[54:55], v[56:57], -v[54:55]
	v_cmp_neq_f64_e64 vcc, |v[54:55]|, 1.0
	s_nop 1
	v_cndmask_b32_e32 v57, v70, v49, vcc
	v_cndmask_b32_e32 v56, 0, v48, vcc
	v_cmp_neq_f64_e32 vcc, 0, v[56:57]
	s_nop 1
	v_cndmask_b32_e32 v59, v70, v55, vcc
	v_cndmask_b32_e32 v58, 0, v54, vcc
	v_frexp_mant_f64_e64 v[60:61], |v[58:59]|
	v_cmp_gt_f64_e32 vcc, s[6:7], v[60:61]
	v_cmp_eq_f64_e64 s[24:25], |v[58:59]|, 0
	s_nop 0
	v_cndmask_b32_e64 v62, 0, 1, vcc
	v_ldexp_f64 v[60:61], v[60:61], v62
	v_add_f64 v[62:63], v[60:61], 1.0
	v_rcp_f64_e32 v[66:67], v[62:63]
	v_add_f64 v[74:75], v[62:63], -1.0
	v_add_f64 v[68:69], v[60:61], -1.0
	v_add_f64 v[60:61], v[60:61], -v[74:75]
	v_fma_f64 v[74:75], -v[62:63], v[66:67], 1.0
	v_fmac_f64_e32 v[66:67], v[74:75], v[66:67]
	v_fma_f64 v[74:75], -v[62:63], v[66:67], 1.0
	v_fmac_f64_e32 v[66:67], v[74:75], v[66:67]
	v_mul_f64 v[74:75], v[68:69], v[66:67]
	v_mul_f64 v[76:77], v[62:63], v[74:75]
	v_fma_f64 v[62:63], v[74:75], v[62:63], -v[76:77]
	v_fmac_f64_e32 v[62:63], v[74:75], v[60:61]
	v_add_f64 v[60:61], v[76:77], v[62:63]
	v_add_f64 v[76:77], v[60:61], -v[76:77]
	v_add_f64 v[62:63], v[76:77], -v[62:63]
	v_add_f64 v[76:77], v[68:69], -v[60:61]
	v_add_f64 v[68:69], v[68:69], -v[76:77]
	v_add_f64 v[60:61], v[68:69], -v[60:61]
	v_add_f64 v[60:61], v[62:63], v[60:61]
	v_add_f64 v[60:61], v[76:77], v[60:61]
	v_mul_f64 v[60:61], v[66:67], v[60:61]
	v_add_f64 v[62:63], v[74:75], v[60:61]
	v_add_f64 v[66:67], v[62:63], -v[74:75]
	v_mul_f64 v[74:75], v[62:63], v[62:63]
	v_add_f64 v[60:61], v[60:61], -v[66:67]
	v_fma_f64 v[66:67], v[62:63], v[62:63], -v[74:75]
	v_add_f64 v[76:77], v[60:61], v[60:61]
	v_fmac_f64_e32 v[66:67], v[62:63], v[76:77]
	v_add_f64 v[76:77], v[74:75], v[66:67]
	v_mov_b64_e32 v[68:69], v[2:3]
	v_add_f64 v[74:75], v[76:77], -v[74:75]
	v_fmac_f64_e32 v[64:65], s[10:11], v[76:77]
	v_add_f64 v[66:67], v[66:67], -v[74:75]
	v_mov_b64_e32 v[74:75], v[4:5]
	v_fmac_f64_e32 v[68:69], v[76:77], v[64:65]
	v_mov_b64_e32 v[64:65], v[6:7]
	v_fmac_f64_e32 v[74:75], v[76:77], v[68:69]
	;; [unrolled: 2-line block ×6, first 2 shown]
	v_mul_f64 v[74:75], v[62:63], v[76:77]
	v_fmac_f64_e32 v[68:69], v[76:77], v[64:65]
	v_fma_f64 v[64:65], v[76:77], v[62:63], -v[74:75]
	v_mul_f64 v[78:79], v[76:77], v[68:69]
	v_fmac_f64_e32 v[64:65], v[76:77], v[60:61]
	v_fma_f64 v[76:77], v[76:77], v[68:69], -v[78:79]
	v_fmac_f64_e32 v[76:77], v[66:67], v[68:69]
	v_fmac_f64_e32 v[64:65], v[66:67], v[62:63]
	v_add_f64 v[66:67], v[78:79], v[76:77]
	v_add_f64 v[68:69], v[66:67], -v[78:79]
	v_add_f64 v[68:69], v[76:77], -v[68:69]
	v_add_f64 v[76:77], v[66:67], s[6:7]
	v_add_f64 v[78:79], v[76:77], s[22:23]
	v_add_f64 v[66:67], v[66:67], -v[78:79]
	v_add_f64 v[68:69], v[68:69], s[26:27]
	v_add_f64 v[66:67], v[68:69], v[66:67]
	;; [unrolled: 1-line block ×3, first 2 shown]
	v_add_f64 v[76:77], v[76:77], -v[68:69]
	v_add_f64 v[66:67], v[66:67], v[76:77]
	v_add_f64 v[76:77], v[74:75], v[64:65]
	v_mul_f64 v[78:79], v[76:77], v[68:69]
	v_fma_f64 v[80:81], v[76:77], v[68:69], -v[78:79]
	v_fmac_f64_e32 v[80:81], v[76:77], v[66:67]
	v_add_f64 v[66:67], v[76:77], -v[74:75]
	v_add_f64 v[64:65], v[64:65], -v[66:67]
	v_frexp_exp_i32_f64_e32 v66, v[58:59]
	v_subbrev_co_u32_e32 v66, vcc, 0, v66, vcc
	v_cvt_f64_i32_e32 v[66:67], v66
	v_fmac_f64_e32 v[80:81], v[64:65], v[68:69]
	v_mul_f64 v[64:65], v[66:67], s[14:15]
	v_fma_f64 v[68:69], v[66:67], s[14:15], -v[64:65]
	v_fmac_f64_e32 v[68:69], s[16:17], v[66:67]
	v_add_f64 v[66:67], v[64:65], v[68:69]
	v_add_f64 v[64:65], v[66:67], -v[64:65]
	v_add_f64 v[68:69], v[68:69], -v[64:65]
	v_ldexp_f64 v[62:63], v[62:63], 1
	v_add_f64 v[64:65], v[78:79], v[80:81]
	v_add_f64 v[74:75], v[64:65], -v[78:79]
	v_add_f64 v[76:77], v[62:63], v[64:65]
	v_add_f64 v[74:75], v[80:81], -v[74:75]
	v_add_f64 v[62:63], v[76:77], -v[62:63]
	v_ldexp_f64 v[60:61], v[60:61], 1
	v_add_f64 v[64:65], v[64:65], -v[62:63]
	v_add_f64 v[60:61], v[60:61], v[74:75]
	v_add_f64 v[60:61], v[60:61], v[64:65]
	;; [unrolled: 1-line block ×3, first 2 shown]
	v_add_f64 v[76:77], v[74:75], -v[76:77]
	v_add_f64 v[64:65], v[66:67], v[74:75]
	v_add_f64 v[60:61], v[60:61], -v[76:77]
	v_add_f64 v[76:77], v[64:65], -v[66:67]
	;; [unrolled: 1-line block ×5, first 2 shown]
	v_add_f64 v[76:77], v[68:69], v[60:61]
	v_add_f64 v[66:67], v[74:75], v[66:67]
	v_add_f64 v[74:75], v[76:77], -v[68:69]
	v_add_f64 v[66:67], v[76:77], v[66:67]
	v_add_f64 v[78:79], v[60:61], -v[74:75]
	v_add_f64 v[60:61], v[76:77], -v[74:75]
	v_add_f64 v[76:77], v[64:65], v[66:67]
	v_add_f64 v[68:69], v[68:69], -v[60:61]
	;; [unrolled: 3-line block ×3, first 2 shown]
	v_add_f64 v[64:65], v[68:69], v[64:65]
	v_add_f64 v[66:67], v[76:77], v[64:65]
	v_add_f64 v[68:69], v[66:67], -v[76:77]
	v_mul_f64 v[76:77], v[56:57], v[66:67]
	v_add_f64 v[64:65], v[64:65], -v[68:69]
	v_fma_f64 v[66:67], v[56:57], v[66:67], -v[76:77]
	v_fmac_f64_e32 v[66:67], v[56:57], v[64:65]
	v_cmp_class_f64_e64 vcc, v[76:77], s33
	v_add_f64 v[64:65], v[76:77], v[66:67]
	v_mov_b64_e32 v[62:63], v[16:17]
	v_cndmask_b32_e32 v79, v65, v77, vcc
	v_cndmask_b32_e32 v78, v64, v76, vcc
	v_add_f64 v[64:65], v[64:65], -v[76:77]
	v_add_f64 v[64:65], v[66:67], -v[64:65]
	v_mul_f64 v[66:67], v[78:79], s[30:31]
	v_rndne_f64_e32 v[68:69], v[66:67]
	v_fma_f64 v[66:67], s[34:35], v[68:69], v[78:79]
	v_fmac_f64_e32 v[66:67], s[36:37], v[68:69]
	v_mov_b64_e32 v[60:61], v[18:19]
	v_fmac_f64_e32 v[62:63], s[38:39], v[66:67]
	v_mov_b64_e32 v[74:75], v[20:21]
	;; [unrolled: 2-line block ×8, first 2 shown]
	v_fmac_f64_e32 v[76:77], v[66:67], v[74:75]
	v_fmac_f64_e32 v[62:63], v[66:67], v[76:77]
	v_fma_f64 v[60:61], v[66:67], v[62:63], 1.0
	v_cmp_neq_f64_e64 vcc, |v[78:79]|, s[28:29]
	v_cvt_i32_f64_e32 v68, v[68:69]
	v_fma_f64 v[60:61], v[66:67], v[60:61], 1.0
	v_cndmask_b32_e32 v65, 0, v65, vcc
	v_cndmask_b32_e32 v64, 0, v64, vcc
	v_cmp_nlt_f64_e64 s[2:3], s[40:41], v[78:79]
	v_cmp_ngt_f64_e32 vcc, s[42:43], v[78:79]
	v_ldexp_f64 v[60:61], v[60:61], v68
	s_and_b64 s[4:5], vcc, s[2:3]
	v_cndmask_b32_e64 v61, v71, v61, s[2:3]
	v_cndmask_b32_e32 v61, 0, v61, vcc
	v_cndmask_b32_e64 v60, 0, v60, s[4:5]
	v_mov_b64_e32 v[62:63], v[60:61]
	v_cmp_neq_f64_e64 s[2:3], v[56:57], |v[56:57]|
	v_cmp_lt_f64_e64 s[4:5], |v[58:59]|, 1.0
	v_fmac_f64_e32 v[62:63], v[62:63], v[64:65]
	v_cmp_class_f64_e64 vcc, v[60:61], s33
	s_xor_b64 s[2:3], s[2:3], s[4:5]
	v_cmp_class_f64_e64 s[4:5], v[58:59], s33
	v_cndmask_b32_e32 v61, v63, v61, vcc
	v_cndmask_b32_e32 v60, v62, v60, vcc
	v_cndmask_b32_e64 v62, v71, 0, s[2:3]
	v_cmp_neq_f64_e64 vcc, |v[58:59]|, 1.0
	v_cmp_gt_f64_e64 s[2:3], 0, v[56:57]
	v_and_b32_e32 v61, 0x7fffffff, v61
	v_cndmask_b32_e32 v62, v70, v62, vcc
	v_cmp_class_f64_e64 vcc, v[56:57], s33
	s_xor_b64 s[2:3], s[2:3], s[24:25]
	s_nop 0
	v_cndmask_b32_e32 v61, v61, v62, vcc
	v_cndmask_b32_e64 v62, v71, 0, s[2:3]
	s_or_b64 s[2:3], s[24:25], s[4:5]
	v_cndmask_b32_e64 v61, v61, v62, s[2:3]
	s_or_b64 s[2:3], s[2:3], vcc
	v_cndmask_b32_e64 v60, v60, 0, s[2:3]
	v_cmp_o_f64_e64 vcc, |v[58:59]|, v[56:57]
	s_nop 1
	v_cndmask_b32_e32 v56, 0, v60, vcc
	v_cndmask_b32_e32 v57, v72, v61, vcc
	v_mul_f64 v[54:55], v[54:55], v[56:57]
	v_mul_f64 v[54:55], v[32:33], v[54:55]
	v_div_scale_f64 v[56:57], s[2:3], v[50:51], v[50:51], v[54:55]
	v_rcp_f64_e32 v[58:59], v[56:57]
	s_nop 0
	v_fma_f64 v[60:61], -v[56:57], v[58:59], 1.0
	v_fmac_f64_e32 v[58:59], v[58:59], v[60:61]
	v_fma_f64 v[60:61], -v[56:57], v[58:59], 1.0
	v_fmac_f64_e32 v[58:59], v[58:59], v[60:61]
	v_div_scale_f64 v[60:61], vcc, v[54:55], v[50:51], v[54:55]
	v_mul_f64 v[62:63], v[60:61], v[58:59]
	v_fma_f64 v[56:57], -v[56:57], v[62:63], v[60:61]
	s_nop 1
	v_div_fmas_f64 v[56:57], v[56:57], v[58:59], v[62:63]
	v_div_fixup_f64 v[54:55], v[56:57], v[50:51], v[54:55]
	s_branch .LBB20_3
.LBB20_6:
	s_endpgm
	.section	.rodata,"a",@progbits
	.p2align	6, 0x0
	.amdhsa_kernel _ZN2at6native12_GLOBAL__N_131pdist_backward_kernel_cuda_implIdNS1_5distsIdE1pEEEvPT_PKS6_S9_S9_llllS6_dd
		.amdhsa_group_segment_fixed_size 0
		.amdhsa_private_segment_fixed_size 0
		.amdhsa_kernarg_size 344
		.amdhsa_user_sgpr_count 2
		.amdhsa_user_sgpr_dispatch_ptr 0
		.amdhsa_user_sgpr_queue_ptr 0
		.amdhsa_user_sgpr_kernarg_segment_ptr 1
		.amdhsa_user_sgpr_dispatch_id 0
		.amdhsa_user_sgpr_kernarg_preload_length 0
		.amdhsa_user_sgpr_kernarg_preload_offset 0
		.amdhsa_user_sgpr_private_segment_size 0
		.amdhsa_uses_dynamic_stack 0
		.amdhsa_enable_private_segment 0
		.amdhsa_system_sgpr_workgroup_id_x 1
		.amdhsa_system_sgpr_workgroup_id_y 1
		.amdhsa_system_sgpr_workgroup_id_z 0
		.amdhsa_system_sgpr_workgroup_info 0
		.amdhsa_system_vgpr_workitem_id 1
		.amdhsa_next_free_vgpr 82
		.amdhsa_next_free_sgpr 45
		.amdhsa_accum_offset 84
		.amdhsa_reserve_vcc 1
		.amdhsa_float_round_mode_32 0
		.amdhsa_float_round_mode_16_64 0
		.amdhsa_float_denorm_mode_32 3
		.amdhsa_float_denorm_mode_16_64 3
		.amdhsa_dx10_clamp 1
		.amdhsa_ieee_mode 1
		.amdhsa_fp16_overflow 0
		.amdhsa_tg_split 0
		.amdhsa_exception_fp_ieee_invalid_op 0
		.amdhsa_exception_fp_denorm_src 0
		.amdhsa_exception_fp_ieee_div_zero 0
		.amdhsa_exception_fp_ieee_overflow 0
		.amdhsa_exception_fp_ieee_underflow 0
		.amdhsa_exception_fp_ieee_inexact 0
		.amdhsa_exception_int_div_zero 0
	.end_amdhsa_kernel
	.section	.text._ZN2at6native12_GLOBAL__N_131pdist_backward_kernel_cuda_implIdNS1_5distsIdE1pEEEvPT_PKS6_S9_S9_llllS6_dd,"axG",@progbits,_ZN2at6native12_GLOBAL__N_131pdist_backward_kernel_cuda_implIdNS1_5distsIdE1pEEEvPT_PKS6_S9_S9_llllS6_dd,comdat
.Lfunc_end20:
	.size	_ZN2at6native12_GLOBAL__N_131pdist_backward_kernel_cuda_implIdNS1_5distsIdE1pEEEvPT_PKS6_S9_S9_llllS6_dd, .Lfunc_end20-_ZN2at6native12_GLOBAL__N_131pdist_backward_kernel_cuda_implIdNS1_5distsIdE1pEEEvPT_PKS6_S9_S9_llllS6_dd
                                        ; -- End function
	.set _ZN2at6native12_GLOBAL__N_131pdist_backward_kernel_cuda_implIdNS1_5distsIdE1pEEEvPT_PKS6_S9_S9_llllS6_dd.num_vgpr, 82
	.set _ZN2at6native12_GLOBAL__N_131pdist_backward_kernel_cuda_implIdNS1_5distsIdE1pEEEvPT_PKS6_S9_S9_llllS6_dd.num_agpr, 0
	.set _ZN2at6native12_GLOBAL__N_131pdist_backward_kernel_cuda_implIdNS1_5distsIdE1pEEEvPT_PKS6_S9_S9_llllS6_dd.numbered_sgpr, 45
	.set _ZN2at6native12_GLOBAL__N_131pdist_backward_kernel_cuda_implIdNS1_5distsIdE1pEEEvPT_PKS6_S9_S9_llllS6_dd.num_named_barrier, 0
	.set _ZN2at6native12_GLOBAL__N_131pdist_backward_kernel_cuda_implIdNS1_5distsIdE1pEEEvPT_PKS6_S9_S9_llllS6_dd.private_seg_size, 0
	.set _ZN2at6native12_GLOBAL__N_131pdist_backward_kernel_cuda_implIdNS1_5distsIdE1pEEEvPT_PKS6_S9_S9_llllS6_dd.uses_vcc, 1
	.set _ZN2at6native12_GLOBAL__N_131pdist_backward_kernel_cuda_implIdNS1_5distsIdE1pEEEvPT_PKS6_S9_S9_llllS6_dd.uses_flat_scratch, 0
	.set _ZN2at6native12_GLOBAL__N_131pdist_backward_kernel_cuda_implIdNS1_5distsIdE1pEEEvPT_PKS6_S9_S9_llllS6_dd.has_dyn_sized_stack, 0
	.set _ZN2at6native12_GLOBAL__N_131pdist_backward_kernel_cuda_implIdNS1_5distsIdE1pEEEvPT_PKS6_S9_S9_llllS6_dd.has_recursion, 0
	.set _ZN2at6native12_GLOBAL__N_131pdist_backward_kernel_cuda_implIdNS1_5distsIdE1pEEEvPT_PKS6_S9_S9_llllS6_dd.has_indirect_call, 0
	.section	.AMDGPU.csdata,"",@progbits
; Kernel info:
; codeLenInByte = 4240
; TotalNumSgprs: 51
; NumVgprs: 82
; NumAgprs: 0
; TotalNumVgprs: 82
; ScratchSize: 0
; MemoryBound: 0
; FloatMode: 240
; IeeeMode: 1
; LDSByteSize: 0 bytes/workgroup (compile time only)
; SGPRBlocks: 6
; VGPRBlocks: 10
; NumSGPRsForWavesPerEU: 51
; NumVGPRsForWavesPerEU: 82
; AccumOffset: 84
; Occupancy: 5
; WaveLimiterHint : 0
; COMPUTE_PGM_RSRC2:SCRATCH_EN: 0
; COMPUTE_PGM_RSRC2:USER_SGPR: 2
; COMPUTE_PGM_RSRC2:TRAP_HANDLER: 0
; COMPUTE_PGM_RSRC2:TGID_X_EN: 1
; COMPUTE_PGM_RSRC2:TGID_Y_EN: 1
; COMPUTE_PGM_RSRC2:TGID_Z_EN: 0
; COMPUTE_PGM_RSRC2:TIDIG_COMP_CNT: 1
; COMPUTE_PGM_RSRC3_GFX90A:ACCUM_OFFSET: 20
; COMPUTE_PGM_RSRC3_GFX90A:TG_SPLIT: 0
	.section	.text._ZN2at6native12_GLOBAL__N_131pdist_backward_kernel_cuda_implIdNS1_5distsIdE3oneEEEvPT_PKS6_S9_S9_llllS6_dd,"axG",@progbits,_ZN2at6native12_GLOBAL__N_131pdist_backward_kernel_cuda_implIdNS1_5distsIdE3oneEEEvPT_PKS6_S9_S9_llllS6_dd,comdat
	.globl	_ZN2at6native12_GLOBAL__N_131pdist_backward_kernel_cuda_implIdNS1_5distsIdE3oneEEEvPT_PKS6_S9_S9_llllS6_dd ; -- Begin function _ZN2at6native12_GLOBAL__N_131pdist_backward_kernel_cuda_implIdNS1_5distsIdE3oneEEEvPT_PKS6_S9_S9_llllS6_dd
	.p2align	8
	.type	_ZN2at6native12_GLOBAL__N_131pdist_backward_kernel_cuda_implIdNS1_5distsIdE3oneEEEvPT_PKS6_S9_S9_llllS6_dd,@function
_ZN2at6native12_GLOBAL__N_131pdist_backward_kernel_cuda_implIdNS1_5distsIdE3oneEEEvPT_PKS6_S9_S9_llllS6_dd: ; @_ZN2at6native12_GLOBAL__N_131pdist_backward_kernel_cuda_implIdNS1_5distsIdE3oneEEEvPT_PKS6_S9_S9_llllS6_dd
; %bb.0:
	s_load_dwordx8 s[4:11], s[0:1], 0x20
	s_load_dword s12, s[0:1], 0x64
	s_add_u32 s20, s0, 0x58
	s_addc_u32 s21, s1, 0
	v_and_b32_e32 v2, 0x3ff, v0
	v_mov_b32_e32 v3, 0
	s_waitcnt lgkmcnt(0)
	s_and_b32 s13, s12, 0xffff
	v_mov_b32_e32 v1, s2
	v_mad_u64_u32 v[2:3], s[14:15], s13, v1, v[2:3]
	v_cmp_gt_i64_e32 vcc, s[10:11], v[2:3]
	s_and_saveexec_b64 s[10:11], vcc
	s_cbranch_execz .LBB21_4
; %bb.1:
	s_lshr_b32 s10, s12, 16
	s_mul_i32 s3, s3, s10
	v_bfe_u32 v0, v0, 10, 10
	v_add_u32_e32 v8, s3, v0
	v_ashrrev_i32_e32 v9, 31, v8
	v_cmp_gt_i64_e32 vcc, s[8:9], v[8:9]
	s_and_b64 exec, exec, vcc
	s_cbranch_execz .LBB21_4
; %bb.2:
	s_load_dwordx4 s[12:15], s[0:1], 0x0
	s_load_dwordx2 s[2:3], s[0:1], 0x10
	s_load_dwordx4 s[16:19], s[0:1], 0x48
	v_lshlrev_b64 v[0:1], 1, v[2:3]
	v_cvt_f64_u32_e32 v[4:5], v1
	v_ldexp_f64 v[4:5], v[4:5], 32
	v_cvt_f64_u32_e32 v[0:1], v0
	v_add_f64 v[0:1], v[4:5], v[0:1]
	s_mov_b32 s0, 0
	s_waitcnt lgkmcnt(0)
	v_add_f64 v[0:1], s[18:19], -v[0:1]
	s_brev_b32 s1, 8
	v_mov_b32_e32 v4, 0x100
	v_cmp_gt_f64_e32 vcc, s[0:1], v[0:1]
	v_mov_b32_e32 v6, s14
	v_mov_b32_e32 v7, s15
	v_cndmask_b32_e32 v4, 0, v4, vcc
	v_ldexp_f64 v[4:5], v[0:1], v4
	v_rsq_f64_e32 v[0:1], v[4:5]
	v_mov_b32_e32 v17, 0
	s_load_dword s11, s[20:21], 0x4
	v_lshlrev_b64 v[8:9], 3, v[8:9]
	v_mul_f64 v[10:11], v[4:5], v[0:1]
	v_mul_f64 v[0:1], v[0:1], 0.5
	v_fma_f64 v[12:13], -v[0:1], v[10:11], 0.5
	v_fmac_f64_e32 v[10:11], v[10:11], v[12:13]
	v_fma_f64 v[14:15], -v[10:11], v[10:11], v[4:5]
	v_fmac_f64_e32 v[0:1], v[0:1], v[12:13]
	v_fmac_f64_e32 v[10:11], v[14:15], v[0:1]
	v_fma_f64 v[12:13], -v[10:11], v[10:11], v[4:5]
	v_fmac_f64_e32 v[10:11], v[12:13], v[0:1]
	v_mov_b32_e32 v0, 0xffffff80
	v_cndmask_b32_e32 v0, 0, v0, vcc
	v_ldexp_f64 v[10:11], v[10:11], v0
	v_mul_lo_u32 v13, v3, s4
	v_mul_lo_u32 v14, v2, s5
	v_mad_u64_u32 v[0:1], s[0:1], v2, s4, 0
	v_add3_u32 v1, v1, v14, v13
	v_lshl_add_u64 v[0:1], v[0:1], 3, v[6:7]
	global_load_dwordx2 v[0:1], v[0:1], off
	v_mov_b32_e32 v12, 0x260
	v_cmp_class_f64_e32 vcc, v[4:5], v12
	s_movk_i32 s0, 0xffe0
	s_nop 0
	v_cndmask_b32_e32 v5, v11, v5, vcc
	v_cndmask_b32_e32 v4, v10, v4, vcc
	v_add_f64 v[4:5], s[16:17], -v[4:5]
	v_trunc_f64_e32 v[4:5], v[4:5]
	v_ldexp_f64 v[6:7], v[4:5], s0
	v_floor_f64_e32 v[6:7], v[6:7]
	v_fmac_f64_e32 v[4:5], 0xc1f00000, v[6:7]
	v_cvt_u32_f64_e32 v12, v[4:5]
	v_cvt_i32_f64_e32 v13, v[6:7]
	v_lshl_add_u64 v[14:15], v[12:13], 0, 1
	v_mul_lo_u32 v18, v15, v12
	v_mul_hi_u32 v16, v14, v12
	v_mul_lo_u32 v19, v14, v13
	v_add3_u32 v16, v16, v19, v18
	v_lshrrev_b32_e32 v16, 31, v16
	v_mad_u64_u32 v[16:17], s[4:5], v14, v12, v[16:17]
	v_add3_u32 v17, v18, v17, v19
	v_mul_lo_u32 v20, s7, v12
	v_mad_u64_u32 v[18:19], s[4:5], s6, v12, 0
	v_mul_lo_u32 v21, s6, v13
	v_add3_u32 v19, v19, v21, v20
	v_sub_co_u32_e32 v2, vcc, v2, v18
	v_ashrrev_i64 v[16:17], 1, v[16:17]
	s_nop 0
	v_subb_co_u32_e32 v3, vcc, v3, v19, vcc
	v_lshl_add_u64 v[2:3], v[16:17], 0, v[2:3]
	v_mov_b32_e32 v17, s7
	v_sub_co_u32_e32 v16, vcc, s6, v12
	v_lshl_add_u64 v[14:15], v[14:15], 0, v[2:3]
	s_nop 0
	v_subb_co_u32_e32 v17, vcc, v17, v13, vcc
	v_lshl_add_u64 v[16:17], v[16:17], 0, -2
	v_mad_u64_u32 v[18:19], s[4:5], v16, s6, v[14:15]
	v_mul_lo_u32 v16, v16, s7
	v_mul_lo_u32 v17, v17, s6
	v_add3_u32 v16, v17, v19, v16
	v_mul_lo_u32 v17, v2, s7
	v_mul_lo_u32 v19, v3, s6
	v_mad_u64_u32 v[2:3], s[4:5], v2, s6, v[12:13]
	v_add3_u32 v3, v19, v3, v17
	v_mul_lo_u32 v6, s9, v12
	v_mad_u64_u32 v[4:5], s[0:1], s8, v12, 0
	v_mul_lo_u32 v7, s8, v13
	v_mul_lo_u32 v12, v3, s8
	;; [unrolled: 1-line block ×3, first 2 shown]
	v_mad_u64_u32 v[2:3], s[4:5], v2, s8, 0
	v_add3_u32 v3, v3, v13, v12
	v_mul_lo_u32 v15, v15, s8
	v_mul_lo_u32 v17, v14, s9
	v_mad_u64_u32 v[12:13], s[4:5], v14, s8, 0
	v_add3_u32 v5, v5, v7, v6
	v_add3_u32 v13, v13, v17, v15
	v_lshl_add_u64 v[4:5], v[4:5], 3, s[2:3]
	s_waitcnt lgkmcnt(0)
	s_mul_i32 s0, s11, s10
	v_lshl_add_u64 v[12:13], v[12:13], 3, s[2:3]
	v_mul_lo_u32 v17, s9, v18
	v_mul_lo_u32 v16, s8, v16
	v_mad_u64_u32 v[14:15], s[2:3], s8, v18, 0
	s_ashr_i32 s1, s0, 31
	v_add3_u32 v15, v15, v16, v17
	v_lshl_add_u64 v[6:7], s[8:9], 3, v[4:5]
	v_lshl_add_u64 v[10:11], v[4:5], 0, v[8:9]
	;; [unrolled: 1-line block ×4, first 2 shown]
	s_lshl_b64 s[2:3], s[0:1], 3
	s_mov_b64 s[4:5], 0
.LBB21_3:                               ; =>This Inner Loop Header: Depth=1
	v_lshl_add_u64 v[18:19], v[4:5], 0, v[8:9]
	v_lshl_add_u64 v[16:17], v[12:13], 0, v[8:9]
	global_load_dwordx2 v[20:21], v[18:19], off
	global_load_dwordx2 v[22:23], v[16:17], off
	v_lshl_add_u64 v[10:11], s[0:1], 3, v[10:11]
	v_cmp_ge_u64_e32 vcc, v[10:11], v[6:7]
	s_or_b64 s[4:5], vcc, s[4:5]
	v_lshl_add_u64 v[18:19], v[2:3], 0, v[8:9]
	v_lshl_add_u64 v[16:17], v[14:15], 0, v[8:9]
	;; [unrolled: 1-line block ×3, first 2 shown]
	s_waitcnt vmcnt(0)
	v_add_f64 v[20:21], v[20:21], -v[22:23]
	v_cmp_lt_f64_e32 vcc, 0, v[20:21]
	s_nop 1
	v_cndmask_b32_e64 v22, 0, 1, vcc
	v_cmp_gt_f64_e32 vcc, 0, v[20:21]
	s_nop 1
	v_subbrev_co_u32_e32 v20, vcc, 0, v22, vcc
	v_cvt_f64_i32_e32 v[20:21], v20
	v_mul_f64 v[20:21], v[0:1], v[20:21]
	global_store_dwordx2 v[18:19], v[20:21], off
	v_xor_b32_e32 v21, 0x80000000, v21
	global_store_dwordx2 v[16:17], v[20:21], off
	s_andn2_b64 exec, exec, s[4:5]
	s_cbranch_execnz .LBB21_3
.LBB21_4:
	s_endpgm
	.section	.rodata,"a",@progbits
	.p2align	6, 0x0
	.amdhsa_kernel _ZN2at6native12_GLOBAL__N_131pdist_backward_kernel_cuda_implIdNS1_5distsIdE3oneEEEvPT_PKS6_S9_S9_llllS6_dd
		.amdhsa_group_segment_fixed_size 0
		.amdhsa_private_segment_fixed_size 0
		.amdhsa_kernarg_size 344
		.amdhsa_user_sgpr_count 2
		.amdhsa_user_sgpr_dispatch_ptr 0
		.amdhsa_user_sgpr_queue_ptr 0
		.amdhsa_user_sgpr_kernarg_segment_ptr 1
		.amdhsa_user_sgpr_dispatch_id 0
		.amdhsa_user_sgpr_kernarg_preload_length 0
		.amdhsa_user_sgpr_kernarg_preload_offset 0
		.amdhsa_user_sgpr_private_segment_size 0
		.amdhsa_uses_dynamic_stack 0
		.amdhsa_enable_private_segment 0
		.amdhsa_system_sgpr_workgroup_id_x 1
		.amdhsa_system_sgpr_workgroup_id_y 1
		.amdhsa_system_sgpr_workgroup_id_z 0
		.amdhsa_system_sgpr_workgroup_info 0
		.amdhsa_system_vgpr_workitem_id 1
		.amdhsa_next_free_vgpr 24
		.amdhsa_next_free_sgpr 22
		.amdhsa_accum_offset 24
		.amdhsa_reserve_vcc 1
		.amdhsa_float_round_mode_32 0
		.amdhsa_float_round_mode_16_64 0
		.amdhsa_float_denorm_mode_32 3
		.amdhsa_float_denorm_mode_16_64 3
		.amdhsa_dx10_clamp 1
		.amdhsa_ieee_mode 1
		.amdhsa_fp16_overflow 0
		.amdhsa_tg_split 0
		.amdhsa_exception_fp_ieee_invalid_op 0
		.amdhsa_exception_fp_denorm_src 0
		.amdhsa_exception_fp_ieee_div_zero 0
		.amdhsa_exception_fp_ieee_overflow 0
		.amdhsa_exception_fp_ieee_underflow 0
		.amdhsa_exception_fp_ieee_inexact 0
		.amdhsa_exception_int_div_zero 0
	.end_amdhsa_kernel
	.section	.text._ZN2at6native12_GLOBAL__N_131pdist_backward_kernel_cuda_implIdNS1_5distsIdE3oneEEEvPT_PKS6_S9_S9_llllS6_dd,"axG",@progbits,_ZN2at6native12_GLOBAL__N_131pdist_backward_kernel_cuda_implIdNS1_5distsIdE3oneEEEvPT_PKS6_S9_S9_llllS6_dd,comdat
.Lfunc_end21:
	.size	_ZN2at6native12_GLOBAL__N_131pdist_backward_kernel_cuda_implIdNS1_5distsIdE3oneEEEvPT_PKS6_S9_S9_llllS6_dd, .Lfunc_end21-_ZN2at6native12_GLOBAL__N_131pdist_backward_kernel_cuda_implIdNS1_5distsIdE3oneEEEvPT_PKS6_S9_S9_llllS6_dd
                                        ; -- End function
	.set _ZN2at6native12_GLOBAL__N_131pdist_backward_kernel_cuda_implIdNS1_5distsIdE3oneEEEvPT_PKS6_S9_S9_llllS6_dd.num_vgpr, 24
	.set _ZN2at6native12_GLOBAL__N_131pdist_backward_kernel_cuda_implIdNS1_5distsIdE3oneEEEvPT_PKS6_S9_S9_llllS6_dd.num_agpr, 0
	.set _ZN2at6native12_GLOBAL__N_131pdist_backward_kernel_cuda_implIdNS1_5distsIdE3oneEEEvPT_PKS6_S9_S9_llllS6_dd.numbered_sgpr, 22
	.set _ZN2at6native12_GLOBAL__N_131pdist_backward_kernel_cuda_implIdNS1_5distsIdE3oneEEEvPT_PKS6_S9_S9_llllS6_dd.num_named_barrier, 0
	.set _ZN2at6native12_GLOBAL__N_131pdist_backward_kernel_cuda_implIdNS1_5distsIdE3oneEEEvPT_PKS6_S9_S9_llllS6_dd.private_seg_size, 0
	.set _ZN2at6native12_GLOBAL__N_131pdist_backward_kernel_cuda_implIdNS1_5distsIdE3oneEEEvPT_PKS6_S9_S9_llllS6_dd.uses_vcc, 1
	.set _ZN2at6native12_GLOBAL__N_131pdist_backward_kernel_cuda_implIdNS1_5distsIdE3oneEEEvPT_PKS6_S9_S9_llllS6_dd.uses_flat_scratch, 0
	.set _ZN2at6native12_GLOBAL__N_131pdist_backward_kernel_cuda_implIdNS1_5distsIdE3oneEEEvPT_PKS6_S9_S9_llllS6_dd.has_dyn_sized_stack, 0
	.set _ZN2at6native12_GLOBAL__N_131pdist_backward_kernel_cuda_implIdNS1_5distsIdE3oneEEEvPT_PKS6_S9_S9_llllS6_dd.has_recursion, 0
	.set _ZN2at6native12_GLOBAL__N_131pdist_backward_kernel_cuda_implIdNS1_5distsIdE3oneEEEvPT_PKS6_S9_S9_llllS6_dd.has_indirect_call, 0
	.section	.AMDGPU.csdata,"",@progbits
; Kernel info:
; codeLenInByte = 1008
; TotalNumSgprs: 28
; NumVgprs: 24
; NumAgprs: 0
; TotalNumVgprs: 24
; ScratchSize: 0
; MemoryBound: 0
; FloatMode: 240
; IeeeMode: 1
; LDSByteSize: 0 bytes/workgroup (compile time only)
; SGPRBlocks: 3
; VGPRBlocks: 2
; NumSGPRsForWavesPerEU: 28
; NumVGPRsForWavesPerEU: 24
; AccumOffset: 24
; Occupancy: 8
; WaveLimiterHint : 1
; COMPUTE_PGM_RSRC2:SCRATCH_EN: 0
; COMPUTE_PGM_RSRC2:USER_SGPR: 2
; COMPUTE_PGM_RSRC2:TRAP_HANDLER: 0
; COMPUTE_PGM_RSRC2:TGID_X_EN: 1
; COMPUTE_PGM_RSRC2:TGID_Y_EN: 1
; COMPUTE_PGM_RSRC2:TGID_Z_EN: 0
; COMPUTE_PGM_RSRC2:TIDIG_COMP_CNT: 1
; COMPUTE_PGM_RSRC3_GFX90A:ACCUM_OFFSET: 5
; COMPUTE_PGM_RSRC3_GFX90A:TG_SPLIT: 0
	.section	.text._ZN2at6native12_GLOBAL__N_131pdist_backward_kernel_cuda_implIdNS1_5distsIdE6lt_twoEEEvPT_PKS6_S9_S9_llllS6_dd,"axG",@progbits,_ZN2at6native12_GLOBAL__N_131pdist_backward_kernel_cuda_implIdNS1_5distsIdE6lt_twoEEEvPT_PKS6_S9_S9_llllS6_dd,comdat
	.globl	_ZN2at6native12_GLOBAL__N_131pdist_backward_kernel_cuda_implIdNS1_5distsIdE6lt_twoEEEvPT_PKS6_S9_S9_llllS6_dd ; -- Begin function _ZN2at6native12_GLOBAL__N_131pdist_backward_kernel_cuda_implIdNS1_5distsIdE6lt_twoEEEvPT_PKS6_S9_S9_llllS6_dd
	.p2align	8
	.type	_ZN2at6native12_GLOBAL__N_131pdist_backward_kernel_cuda_implIdNS1_5distsIdE6lt_twoEEEvPT_PKS6_S9_S9_llllS6_dd,@function
_ZN2at6native12_GLOBAL__N_131pdist_backward_kernel_cuda_implIdNS1_5distsIdE6lt_twoEEEvPT_PKS6_S9_S9_llllS6_dd: ; @_ZN2at6native12_GLOBAL__N_131pdist_backward_kernel_cuda_implIdNS1_5distsIdE6lt_twoEEEvPT_PKS6_S9_S9_llllS6_dd
; %bb.0:
	s_load_dwordx16 s[4:19], s[0:1], 0x0
	s_load_dword s20, s[0:1], 0x64
	s_add_u32 s24, s0, 0x58
	s_addc_u32 s25, s1, 0
	v_and_b32_e32 v2, 0x3ff, v0
	v_mov_b32_e32 v3, 0
	s_waitcnt lgkmcnt(0)
	s_and_b32 s21, s20, 0xffff
	v_mov_b32_e32 v1, s2
	v_mad_u64_u32 v[4:5], s[22:23], s21, v1, v[2:3]
	v_cmp_gt_i64_e32 vcc, s[18:19], v[4:5]
	s_and_saveexec_b64 s[18:19], vcc
	s_cbranch_execz .LBB22_6
; %bb.1:
	s_lshr_b32 s33, s20, 16
	s_mul_i32 s3, s3, s33
	v_bfe_u32 v0, v0, 10, 10
	v_add_u32_e32 v18, s3, v0
	v_ashrrev_i32_e32 v19, 31, v18
	v_cmp_gt_i64_e32 vcc, s[16:17], v[18:19]
	s_and_b64 exec, exec, vcc
	s_cbranch_execz .LBB22_6
; %bb.2:
	v_mov_b32_e32 v0, s10
	v_mov_b32_e32 v1, s11
	v_lshl_add_u64 v[0:1], v[4:5], 3, v[0:1]
	global_load_dwordx2 v[32:33], v[0:1], off
	s_load_dwordx4 s[20:23], s[0:1], 0x40
	s_load_dwordx2 s[2:3], s[0:1], 0x50
	v_lshlrev_b64 v[6:7], 1, v[4:5]
	v_cvt_f64_u32_e32 v[10:11], v7
	v_cvt_f64_u32_e32 v[6:7], v6
	v_ldexp_f64 v[10:11], v[10:11], 32
	s_mov_b32 s0, 0
	v_add_f64 v[6:7], v[10:11], v[6:7]
	s_brev_b32 s1, 8
	s_waitcnt lgkmcnt(0)
	v_add_f64 v[6:7], s[2:3], -v[6:7]
	v_mov_b32_e32 v12, 0x100
	v_cmp_gt_f64_e32 vcc, s[0:1], v[6:7]
	v_mov_b32_e32 v2, s6
	v_mov_b32_e32 v3, s7
	v_cndmask_b32_e32 v10, 0, v12, vcc
	v_ldexp_f64 v[6:7], v[6:7], v10
	v_rsq_f64_e32 v[10:11], v[6:7]
	v_mul_lo_u32 v15, v5, s12
	v_mul_lo_u32 v16, v4, s13
	v_mad_u64_u32 v[8:9], s[6:7], v4, s12, 0
	v_add3_u32 v9, v9, v16, v15
	v_mov_b32_e32 v13, 0xffffff80
	v_lshl_add_u64 v[40:41], v[8:9], 3, v[2:3]
	v_mul_f64 v[8:9], v[6:7], v[10:11]
	v_mul_f64 v[10:11], v[10:11], 0.5
	v_cndmask_b32_e32 v15, 0, v13, vcc
	v_fma_f64 v[12:13], -v[10:11], v[8:9], 0.5
	v_fmac_f64_e32 v[8:9], v[8:9], v[12:13]
	v_fmac_f64_e32 v[10:11], v[10:11], v[12:13]
	v_fma_f64 v[12:13], -v[8:9], v[8:9], v[6:7]
	v_fmac_f64_e32 v[8:9], v[12:13], v[10:11]
	v_fma_f64 v[12:13], -v[8:9], v[8:9], v[6:7]
	v_mov_b32_e32 v14, 0x260
	v_fmac_f64_e32 v[8:9], v[12:13], v[10:11]
	v_ldexp_f64 v[8:9], v[8:9], v15
	v_cmp_class_f64_e32 vcc, v[6:7], v14
	s_movk_i32 s18, 0xffe0
	v_mov_b32_e32 v60, 0x3ff00000
	v_cndmask_b32_e32 v7, v9, v7, vcc
	v_cndmask_b32_e32 v6, v8, v6, vcc
	v_add_f64 v[6:7], s[22:23], -v[6:7]
	v_trunc_f64_e32 v[6:7], v[6:7]
	v_ldexp_f64 v[8:9], v[6:7], s18
	v_floor_f64_e32 v[8:9], v[8:9]
	v_fmac_f64_e32 v[6:7], 0xc1f00000, v[8:9]
	v_cvt_i32_f64_e32 v49, v[8:9]
	v_cvt_u32_f64_e32 v48, v[6:7]
	v_mul_lo_u32 v9, s14, v49
	v_mul_lo_u32 v11, s15, v48
	v_mad_u64_u32 v[6:7], s[0:1], s14, v48, 0
	v_add3_u32 v7, v7, v9, v11
	v_sub_co_u32_e32 v50, vcc, v4, v6
	v_add_f64 v[2:3], s[20:21], -1.0
	s_nop 0
	v_subb_co_u32_e32 v51, vcc, v5, v7, vcc
	s_mov_b32 s6, 0x55555555
	s_mov_b32 s7, 0x3fe55555
	v_mul_lo_u32 v8, s16, v49
	v_mul_lo_u32 v10, s17, v48
	v_mad_u64_u32 v[42:43], s[0:1], s16, v48, 0
	v_add3_u32 v43, v43, v8, v10
	v_mov_b32_e32 v0, 0x968915a9
	v_mov_b32_e32 v1, 0x3fba6564
	s_mov_b32 s10, 0x4222de17
	s_mov_b32 s11, 0x3fbdee67
	;; [unrolled: 1-line block ×10, first 2 shown]
	global_load_dwordx2 v[40:41], v[40:41], off
	s_movk_i32 s44, 0x204
	s_mov_b32 s30, 0x652b82fe
	s_waitcnt vmcnt(1)
	v_cmp_neq_f64_e32 vcc, 1.0, v[32:33]
	s_mov_b32 s31, 0x3ff71547
	s_mov_b32 s28, 0
	v_cndmask_b32_e32 v45, v60, v3, vcc
	v_cndmask_b32_e32 v44, 0, v2, vcc
	v_cmp_neq_f64_e32 vcc, 0, v[44:45]
	s_mov_b32 s29, 0x7ff00000
	s_mov_b32 s35, 0xbfe62e42
	v_cndmask_b32_e32 v47, v60, v33, vcc
	v_cndmask_b32_e32 v46, 0, v32, vcc
	v_frexp_mant_f64_e64 v[4:5], |v[46:47]|
	v_cmp_gt_f64_e32 vcc, s[6:7], v[4:5]
	v_frexp_exp_i32_f64_e32 v6, v[46:47]
	s_mov_b32 s34, s12
	v_cndmask_b32_e64 v7, 0, 1, vcc
	v_ldexp_f64 v[4:5], v[4:5], v7
	v_subbrev_co_u32_e32 v34, vcc, 0, v6, vcc
	v_add_f64 v[6:7], v[4:5], 1.0
	v_rcp_f64_e32 v[8:9], v[6:7]
	v_add_f64 v[12:13], v[6:7], -1.0
	v_add_f64 v[10:11], v[4:5], -1.0
	v_add_f64 v[4:5], v[4:5], -v[12:13]
	v_fma_f64 v[12:13], -v[6:7], v[8:9], 1.0
	v_fmac_f64_e32 v[8:9], v[12:13], v[8:9]
	v_fma_f64 v[12:13], -v[6:7], v[8:9], 1.0
	v_fmac_f64_e32 v[8:9], v[12:13], v[8:9]
	v_mul_f64 v[12:13], v[10:11], v[8:9]
	v_mul_f64 v[14:15], v[6:7], v[12:13]
	v_fma_f64 v[6:7], v[12:13], v[6:7], -v[14:15]
	v_fmac_f64_e32 v[6:7], v[12:13], v[4:5]
	v_add_f64 v[4:5], v[14:15], v[6:7]
	v_add_f64 v[16:17], v[10:11], -v[4:5]
	v_add_f64 v[14:15], v[4:5], -v[14:15]
	;; [unrolled: 1-line block ×5, first 2 shown]
	v_add_f64 v[4:5], v[6:7], v[4:5]
	v_add_f64 v[4:5], v[16:17], v[4:5]
	v_mul_f64 v[4:5], v[8:9], v[4:5]
	v_add_f64 v[20:21], v[12:13], v[4:5]
	v_add_f64 v[6:7], v[20:21], -v[12:13]
	v_mul_f64 v[8:9], v[20:21], v[20:21]
	v_add_f64 v[22:23], v[4:5], -v[6:7]
	v_fma_f64 v[4:5], v[20:21], v[20:21], -v[8:9]
	v_add_f64 v[6:7], v[22:23], v[22:23]
	v_fmac_f64_e32 v[4:5], v[20:21], v[6:7]
	v_add_f64 v[24:25], v[8:9], v[4:5]
	v_add_f64 v[6:7], v[24:25], -v[8:9]
	v_add_f64 v[26:27], v[4:5], -v[6:7]
	v_mov_b64_e32 v[6:7], v[0:1]
	v_mov_b32_e32 v4, 0x3abe935a
	v_mov_b32_e32 v5, 0x3fbe25e4
	v_fmac_f64_e32 v[6:7], s[10:11], v[24:25]
	v_mov_b64_e32 v[8:9], v[4:5]
	v_fmac_f64_e32 v[8:9], v[24:25], v[6:7]
	v_mov_b32_e32 v6, 0x47e6c9c2
	v_mov_b32_e32 v7, 0x3fc110ef
	v_mov_b64_e32 v[10:11], v[6:7]
	v_fmac_f64_e32 v[10:11], v[24:25], v[8:9]
	v_mov_b32_e32 v8, 0xcfa74449
	v_mov_b32_e32 v9, 0x3fc3b13b
	;; [unrolled: 4-line block ×6, first 2 shown]
	v_mov_b64_e32 v[30:31], v[16:17]
	v_fmac_f64_e32 v[30:31], v[24:25], v[28:29]
	v_cvt_f64_i32_e32 v[28:29], v34
	v_mul_f64 v[34:35], v[28:29], s[12:13]
	v_fma_f64 v[36:37], v[28:29], s[12:13], -v[34:35]
	v_mul_f64 v[52:53], v[20:21], v[24:25]
	v_fmac_f64_e32 v[36:37], s[18:19], v[28:29]
	v_fma_f64 v[54:55], v[24:25], v[20:21], -v[52:53]
	v_add_f64 v[28:29], v[34:35], v[36:37]
	v_fmac_f64_e32 v[54:55], v[24:25], v[22:23]
	v_add_f64 v[34:35], v[28:29], -v[34:35]
	v_fmac_f64_e32 v[54:55], v[26:27], v[20:21]
	v_add_f64 v[34:35], v[36:37], -v[34:35]
	v_ldexp_f64 v[36:37], v[20:21], 1
	v_add_f64 v[20:21], v[52:53], v[54:55]
	v_ldexp_f64 v[38:39], v[22:23], 1
	v_add_f64 v[22:23], v[20:21], -v[52:53]
	v_mul_f64 v[52:53], v[24:25], v[30:31]
	v_fma_f64 v[24:25], v[24:25], v[30:31], -v[52:53]
	v_fmac_f64_e32 v[24:25], v[26:27], v[30:31]
	v_add_f64 v[26:27], v[52:53], v[24:25]
	v_add_f64 v[30:31], v[26:27], -v[52:53]
	v_add_f64 v[24:25], v[24:25], -v[30:31]
	v_add_f64 v[30:31], v[26:27], s[6:7]
	v_add_f64 v[52:53], v[30:31], s[22:23]
	v_add_f64 v[26:27], v[26:27], -v[52:53]
	v_add_f64 v[24:25], v[24:25], s[26:27]
	v_add_f64 v[24:25], v[24:25], v[26:27]
	;; [unrolled: 1-line block ×3, first 2 shown]
	v_add_f64 v[30:31], v[30:31], -v[26:27]
	v_add_f64 v[24:25], v[24:25], v[30:31]
	v_mul_f64 v[30:31], v[20:21], v[26:27]
	v_fma_f64 v[52:53], v[20:21], v[26:27], -v[30:31]
	v_add_f64 v[22:23], v[54:55], -v[22:23]
	v_fmac_f64_e32 v[52:53], v[20:21], v[24:25]
	v_fmac_f64_e32 v[52:53], v[22:23], v[26:27]
	v_add_f64 v[20:21], v[30:31], v[52:53]
	v_add_f64 v[22:23], v[20:21], -v[30:31]
	v_add_f64 v[24:25], v[36:37], v[20:21]
	v_add_f64 v[22:23], v[52:53], -v[22:23]
	v_add_f64 v[26:27], v[24:25], -v[36:37]
	v_add_f64 v[20:21], v[20:21], -v[26:27]
	v_add_f64 v[22:23], v[38:39], v[22:23]
	v_add_f64 v[20:21], v[22:23], v[20:21]
	;; [unrolled: 1-line block ×3, first 2 shown]
	v_add_f64 v[24:25], v[22:23], -v[24:25]
	v_add_f64 v[20:21], v[20:21], -v[24:25]
	v_add_f64 v[24:25], v[28:29], v[22:23]
	v_add_f64 v[26:27], v[24:25], -v[28:29]
	v_add_f64 v[30:31], v[24:25], -v[26:27]
	;; [unrolled: 1-line block ×4, first 2 shown]
	v_add_f64 v[22:23], v[22:23], v[28:29]
	v_add_f64 v[26:27], v[34:35], v[20:21]
	v_add_f64 v[28:29], v[26:27], -v[34:35]
	v_add_f64 v[22:23], v[26:27], v[22:23]
	v_add_f64 v[30:31], v[26:27], -v[28:29]
	;; [unrolled: 2-line block ×3, first 2 shown]
	v_add_f64 v[20:21], v[20:21], -v[28:29]
	v_add_f64 v[24:25], v[26:27], -v[24:25]
	v_add_f64 v[20:21], v[20:21], v[30:31]
	v_add_f64 v[22:23], v[22:23], -v[24:25]
	v_add_f64 v[20:21], v[20:21], v[22:23]
	v_add_f64 v[22:23], v[26:27], v[20:21]
	v_add_f64 v[24:25], v[22:23], -v[26:27]
	v_add_f64 v[20:21], v[20:21], -v[24:25]
	v_mul_f64 v[24:25], v[44:45], v[22:23]
	v_fma_f64 v[22:23], v[44:45], v[22:23], -v[24:25]
	v_fmac_f64_e32 v[22:23], v[44:45], v[20:21]
	v_add_f64 v[20:21], v[24:25], v[22:23]
	v_cmp_class_f64_e64 vcc, v[24:25], s44
	v_add_f64 v[26:27], v[20:21], -v[24:25]
	v_add_f64 v[22:23], v[22:23], -v[26:27]
	v_cndmask_b32_e32 v53, v21, v25, vcc
	v_cndmask_b32_e32 v52, v20, v24, vcc
	v_mul_f64 v[20:21], v[52:53], s[30:31]
	v_rndne_f64_e32 v[56:57], v[20:21]
	v_cmp_neq_f64_e64 vcc, |v[52:53]|, s[28:29]
	v_fma_f64 v[58:59], s[34:35], v[56:57], v[52:53]
	s_mov_b32 s37, 0xbc7abc9e
	s_mov_b32 s36, s18
	v_mov_b32_e32 v20, 0xfca7ab0c
	v_mov_b32_e32 v21, 0x3e928af3
	s_mov_b32 s38, 0x6a5dcb37
	v_cndmask_b32_e32 v55, 0, v23, vcc
	v_cndmask_b32_e32 v54, 0, v22, vcc
	v_fmac_f64_e32 v[58:59], s[36:37], v[56:57]
	s_mov_b32 s39, 0x3e5ade15
	v_mov_b64_e32 v[24:25], v[20:21]
	v_mov_b32_e32 v22, 0x623fde64
	v_mov_b32_e32 v23, 0x3ec71dee
	v_fmac_f64_e32 v[24:25], s[38:39], v[58:59]
	v_mov_b64_e32 v[26:27], v[22:23]
	v_fmac_f64_e32 v[26:27], v[58:59], v[24:25]
	v_mov_b32_e32 v24, 0x7c89e6b0
	v_mov_b32_e32 v25, 0x3efa0199
	v_mov_b64_e32 v[28:29], v[24:25]
	v_fmac_f64_e32 v[28:29], v[58:59], v[26:27]
	v_mov_b32_e32 v26, 0x14761f6e
	v_mov_b32_e32 v27, 0x3f2a01a0
	;; [unrolled: 4-line block ×7, first 2 shown]
	v_mov_b64_e32 v[64:65], v[38:39]
	v_fmac_f64_e32 v[64:65], v[58:59], v[62:63]
	v_fma_f64 v[62:63], v[58:59], v[64:65], 1.0
	s_mov_b32 s40, 0
	s_mov_b32 s42, 0
	v_fma_f64 v[58:59], v[58:59], v[62:63], 1.0
	v_cvt_i32_f64_e32 v56, v[56:57]
	s_mov_b32 s41, 0x40900000
	s_mov_b32 s43, 0xc090cc00
	v_ldexp_f64 v[56:57], v[58:59], v56
	v_mov_b32_e32 v61, 0x7ff00000
	v_cmp_nlt_f64_e32 vcc, s[40:41], v[52:53]
	v_cmp_ngt_f64_e64 s[0:1], s[42:43], v[52:53]
	s_brev_b32 s22, -2
	v_cndmask_b32_e32 v57, v61, v57, vcc
	s_and_b64 vcc, s[0:1], vcc
	v_cndmask_b32_e64 v53, 0, v57, s[0:1]
	v_cndmask_b32_e32 v52, 0, v56, vcc
	v_mov_b64_e32 v[56:57], v[52:53]
	v_fmac_f64_e32 v[56:57], v[56:57], v[54:55]
	v_cmp_class_f64_e64 vcc, v[52:53], s44
	v_mov_b32_e32 v62, 0x7ff80000
	v_cmp_lt_f64_e64 s[2:3], |v[46:47]|, 1.0
	v_cndmask_b32_e32 v56, v56, v52, vcc
	v_cndmask_b32_e32 v57, v57, v53, vcc
	v_mul_f64 v[52:53], v[44:45], 0.5
	v_trunc_f64_e32 v[54:55], v[52:53]
	v_cmp_neq_f64_e32 vcc, v[54:55], v[52:53]
	v_lshl_add_u64 v[52:53], v[48:49], 0, 1
	v_mul_lo_u32 v58, v53, v48
	v_mul_hi_u32 v54, v52, v48
	v_mul_lo_u32 v59, v52, v49
	v_add3_u32 v54, v54, v59, v58
	v_lshrrev_b32_e32 v54, 31, v54
	v_mov_b32_e32 v55, 0
	v_mad_u64_u32 v[54:55], s[0:1], v52, v48, v[54:55]
	v_add3_u32 v55, v58, v55, v59
	v_ashrrev_i64 v[54:55], 1, v[54:55]
	v_lshl_add_u64 v[50:51], v[54:55], 0, v[50:51]
	v_trunc_f64_e32 v[54:55], v[44:45]
	v_cmp_eq_f64_e64 s[0:1], v[54:55], v[44:45]
	s_and_b64 vcc, s[0:1], vcc
	v_cndmask_b32_e32 v54, v60, v47, vcc
	v_bfi_b32 v54, s22, v57, v54
	v_cndmask_b32_e64 v55, v62, v54, s[0:1]
	v_cndmask_b32_e64 v57, 0, v56, s[0:1]
	v_cmp_gt_f64_e64 s[0:1], 0, v[46:47]
	v_lshl_add_u64 v[52:53], v[52:53], 0, v[50:51]
	v_lshl_add_u64 v[42:43], v[42:43], 3, s[8:9]
	v_cndmask_b32_e64 v56, v56, v57, s[0:1]
	v_cndmask_b32_e64 v54, v54, v55, s[0:1]
	v_cmp_neq_f64_e64 s[0:1], v[44:45], |v[44:45]|
	s_xor_b64 s[0:1], s[0:1], s[2:3]
	v_cmp_gt_f64_e64 s[2:3], 0, v[44:45]
	v_cndmask_b32_e64 v55, v61, 0, s[0:1]
	v_cmp_neq_f64_e64 s[0:1], |v[46:47]|, 1.0
	v_cndmask_b32_e32 v57, 0, v47, vcc
	v_cmp_class_f64_e64 vcc, v[46:47], s44
	v_cndmask_b32_e64 v55, v60, v55, s[0:1]
	v_cmp_class_f64_e64 s[0:1], v[44:45], s44
	v_lshlrev_b64 v[18:19], 3, v[18:19]
	v_cmp_lt_f64_e64 s[20:21], s[20:21], 1.0
	v_cndmask_b32_e64 v54, v54, v55, s[0:1]
	v_cndmask_b32_e64 v55, v61, 0, s[2:3]
	v_bfi_b32 v55, s22, v55, v57
	v_cndmask_b32_e32 v63, v54, v55, vcc
	v_mov_b32_e32 v55, s15
	s_or_b64 s[0:1], vcc, s[0:1]
	v_sub_co_u32_e32 v54, vcc, s14, v48
	s_load_dword s2, s[24:25], 0x4
	s_nop 0
	v_subb_co_u32_e32 v55, vcc, v55, v49, vcc
	v_lshl_add_u64 v[54:55], v[54:55], 0, -2
	v_cndmask_b32_e64 v64, v56, 0, s[0:1]
	v_mad_u64_u32 v[56:57], s[0:1], v54, s14, v[52:53]
	v_mul_lo_u32 v54, v54, s15
	v_mul_lo_u32 v55, v55, s14
	v_add3_u32 v57, v55, v57, v54
	v_mul_lo_u32 v54, v50, s15
	v_mul_lo_u32 v55, v51, s14
	v_mad_u64_u32 v[50:51], s[0:1], v50, s14, v[48:49]
	v_add3_u32 v51, v55, v51, v54
	v_mul_lo_u32 v51, v51, s16
	v_mul_lo_u32 v58, v50, s17
	v_mad_u64_u32 v[54:55], s[0:1], v50, s16, 0
	s_waitcnt lgkmcnt(0)
	s_mul_i32 s14, s2, s33
	v_add3_u32 v55, v55, v58, v51
	v_mul_lo_u32 v50, v53, s16
	v_mul_lo_u32 v51, v52, s17
	v_mad_u64_u32 v[58:59], s[0:1], v52, s16, 0
	v_cmp_o_f64_e32 vcc, v[46:47], v[44:45]
	v_mul_lo_u32 v46, s17, v56
	v_mul_lo_u32 v47, s16, v57
	v_mad_u64_u32 v[44:45], s[2:3], s16, v56, 0
	v_add3_u32 v59, v59, v51, v50
	s_ashr_i32 s15, s14, 31
	v_add3_u32 v45, v45, v47, v46
	v_lshl_add_u64 v[48:49], s[16:17], 3, v[42:43]
	v_lshl_add_u64 v[50:51], v[42:43], 0, v[18:19]
	;; [unrolled: 1-line block ×4, first 2 shown]
	s_mov_b64 s[8:9], 0
	v_cmp_eq_f64_e64 s[0:1], 0, v[32:33]
	v_cndmask_b32_e32 v32, 0, v64, vcc
	v_cndmask_b32_e32 v33, v62, v63, vcc
	v_lshl_add_u64 v[44:45], v[44:45], 3, s[4:5]
	s_lshl_b64 s[4:5], s[14:15], 3
	s_branch .LBB22_4
.LBB22_3:                               ;   in Loop: Header=BB22_4 Depth=1
	s_or_b64 exec, exec, s[16:17]
	v_lshl_add_u64 v[50:51], s[14:15], 3, v[50:51]
	v_lshl_add_u64 v[58:59], v[52:53], 0, v[18:19]
	v_cmp_ge_u64_e32 vcc, v[50:51], v[48:49]
	v_lshl_add_u64 v[56:57], v[44:45], 0, v[18:19]
	global_store_dwordx2 v[58:59], v[46:47], off
	v_xor_b32_e32 v47, 0x80000000, v47
	s_or_b64 s[8:9], vcc, s[8:9]
	v_lshl_add_u64 v[18:19], v[18:19], 0, s[4:5]
	global_store_dwordx2 v[56:57], v[46:47], off
	s_andn2_b64 exec, exec, s[8:9]
	s_cbranch_execz .LBB22_6
.LBB22_4:                               ; =>This Inner Loop Header: Depth=1
	v_lshl_add_u64 v[46:47], v[54:55], 0, v[18:19]
	v_lshl_add_u64 v[56:57], v[42:43], 0, v[18:19]
	global_load_dwordx2 v[56:57], v[56:57], off
	s_nop 0
	global_load_dwordx2 v[46:47], v[46:47], off
	s_waitcnt vmcnt(0)
	v_add_f64 v[58:59], v[56:57], -v[46:47]
	v_cmp_eq_f64_e32 vcc, 0, v[58:59]
	s_and_b64 s[2:3], s[20:21], vcc
	v_mov_b64_e32 v[46:47], 0
	s_nor_b64 s[2:3], s[0:1], s[2:3]
	s_and_saveexec_b64 s[16:17], s[2:3]
	s_cbranch_execz .LBB22_3
; %bb.5:                                ;   in Loop: Header=BB22_4 Depth=1
	v_cmp_neq_f64_e64 vcc, |v[58:59]|, 1.0
	s_mov_b32 s22, s6
	s_mov_b32 s34, s12
	v_cndmask_b32_e32 v47, v60, v3, vcc
	v_cndmask_b32_e32 v46, 0, v2, vcc
	v_cmp_neq_f64_e32 vcc, 0, v[46:47]
	s_mov_b32 s36, s18
	s_nop 0
	v_cndmask_b32_e32 v57, v60, v59, vcc
	v_cndmask_b32_e32 v56, 0, v58, vcc
	v_frexp_mant_f64_e64 v[64:65], |v[56:57]|
	v_cmp_gt_f64_e32 vcc, s[6:7], v[64:65]
	v_frexp_exp_i32_f64_e32 v63, v[56:57]
	v_cmp_lt_f64_e64 s[24:25], |v[56:57]|, 1.0
	v_cndmask_b32_e64 v66, 0, 1, vcc
	v_ldexp_f64 v[64:65], v[64:65], v66
	v_add_f64 v[66:67], v[64:65], 1.0
	v_rcp_f64_e32 v[68:69], v[66:67]
	v_add_f64 v[72:73], v[66:67], -1.0
	v_add_f64 v[70:71], v[64:65], -1.0
	v_add_f64 v[64:65], v[64:65], -v[72:73]
	v_fma_f64 v[72:73], -v[66:67], v[68:69], 1.0
	v_fmac_f64_e32 v[68:69], v[72:73], v[68:69]
	v_fma_f64 v[72:73], -v[66:67], v[68:69], 1.0
	v_fmac_f64_e32 v[68:69], v[72:73], v[68:69]
	v_mul_f64 v[72:73], v[70:71], v[68:69]
	v_mul_f64 v[74:75], v[66:67], v[72:73]
	v_fma_f64 v[66:67], v[72:73], v[66:67], -v[74:75]
	v_fmac_f64_e32 v[66:67], v[72:73], v[64:65]
	v_add_f64 v[64:65], v[74:75], v[66:67]
	v_add_f64 v[76:77], v[70:71], -v[64:65]
	v_add_f64 v[74:75], v[64:65], -v[74:75]
	;; [unrolled: 1-line block ×5, first 2 shown]
	v_add_f64 v[64:65], v[66:67], v[64:65]
	v_add_f64 v[64:65], v[76:77], v[64:65]
	v_mul_f64 v[64:65], v[68:69], v[64:65]
	v_add_f64 v[66:67], v[72:73], v[64:65]
	v_add_f64 v[68:69], v[66:67], -v[72:73]
	v_add_f64 v[64:65], v[64:65], -v[68:69]
	v_mul_f64 v[68:69], v[66:67], v[66:67]
	v_fma_f64 v[70:71], v[66:67], v[66:67], -v[68:69]
	v_add_f64 v[72:73], v[64:65], v[64:65]
	v_fmac_f64_e32 v[70:71], v[66:67], v[72:73]
	v_add_f64 v[72:73], v[68:69], v[70:71]
	v_add_f64 v[68:69], v[72:73], -v[68:69]
	v_add_f64 v[68:69], v[70:71], -v[68:69]
	v_mov_b64_e32 v[70:71], v[0:1]
	v_fmac_f64_e32 v[70:71], s[10:11], v[72:73]
	v_mov_b64_e32 v[74:75], v[4:5]
	v_fmac_f64_e32 v[74:75], v[72:73], v[70:71]
	;; [unrolled: 2-line block ×6, first 2 shown]
	v_mov_b64_e32 v[70:71], v[14:15]
	v_subbrev_co_u32_e32 v63, vcc, 0, v63, vcc
	v_fmac_f64_e32 v[70:71], v[72:73], v[74:75]
	v_mov_b64_e32 v[74:75], v[16:17]
	v_fmac_f64_e32 v[74:75], v[72:73], v[70:71]
	v_cvt_f64_i32_e32 v[70:71], v63
	v_mul_f64 v[76:77], v[70:71], s[12:13]
	v_fma_f64 v[78:79], v[70:71], s[12:13], -v[76:77]
	v_fmac_f64_e32 v[78:79], s[18:19], v[70:71]
	v_add_f64 v[70:71], v[76:77], v[78:79]
	v_add_f64 v[76:77], v[70:71], -v[76:77]
	v_add_f64 v[76:77], v[78:79], -v[76:77]
	v_mul_f64 v[78:79], v[66:67], v[72:73]
	v_fma_f64 v[80:81], v[72:73], v[66:67], -v[78:79]
	v_mul_f64 v[82:83], v[72:73], v[74:75]
	v_fmac_f64_e32 v[80:81], v[72:73], v[64:65]
	v_fma_f64 v[72:73], v[72:73], v[74:75], -v[82:83]
	v_fmac_f64_e32 v[72:73], v[68:69], v[74:75]
	v_fmac_f64_e32 v[80:81], v[68:69], v[66:67]
	v_add_f64 v[68:69], v[82:83], v[72:73]
	v_add_f64 v[74:75], v[68:69], -v[82:83]
	v_add_f64 v[72:73], v[72:73], -v[74:75]
	v_add_f64 v[74:75], v[68:69], s[6:7]
	v_add_f64 v[82:83], v[74:75], s[22:23]
	v_add_f64 v[68:69], v[68:69], -v[82:83]
	v_add_f64 v[72:73], v[72:73], s[26:27]
	v_add_f64 v[68:69], v[72:73], v[68:69]
	;; [unrolled: 1-line block ×3, first 2 shown]
	v_add_f64 v[74:75], v[74:75], -v[72:73]
	v_add_f64 v[68:69], v[68:69], v[74:75]
	v_add_f64 v[74:75], v[78:79], v[80:81]
	v_mul_f64 v[82:83], v[74:75], v[72:73]
	v_fma_f64 v[84:85], v[74:75], v[72:73], -v[82:83]
	v_fmac_f64_e32 v[84:85], v[74:75], v[68:69]
	v_add_f64 v[68:69], v[74:75], -v[78:79]
	v_add_f64 v[68:69], v[80:81], -v[68:69]
	v_fmac_f64_e32 v[84:85], v[68:69], v[72:73]
	v_ldexp_f64 v[66:67], v[66:67], 1
	v_add_f64 v[68:69], v[82:83], v[84:85]
	v_add_f64 v[72:73], v[68:69], -v[82:83]
	v_add_f64 v[74:75], v[66:67], v[68:69]
	v_ldexp_f64 v[64:65], v[64:65], 1
	v_add_f64 v[72:73], v[84:85], -v[72:73]
	v_add_f64 v[66:67], v[74:75], -v[66:67]
	;; [unrolled: 1-line block ×3, first 2 shown]
	v_add_f64 v[64:65], v[64:65], v[72:73]
	v_add_f64 v[64:65], v[64:65], v[66:67]
	;; [unrolled: 1-line block ×3, first 2 shown]
	v_add_f64 v[68:69], v[66:67], -v[74:75]
	v_add_f64 v[64:65], v[64:65], -v[68:69]
	v_add_f64 v[68:69], v[70:71], v[66:67]
	v_add_f64 v[72:73], v[68:69], -v[70:71]
	v_add_f64 v[74:75], v[68:69], -v[72:73]
	v_add_f64 v[70:71], v[70:71], -v[74:75]
	v_add_f64 v[66:67], v[66:67], -v[72:73]
	v_add_f64 v[66:67], v[66:67], v[70:71]
	v_add_f64 v[70:71], v[76:77], v[64:65]
	v_add_f64 v[72:73], v[70:71], -v[76:77]
	v_add_f64 v[66:67], v[70:71], v[66:67]
	v_add_f64 v[74:75], v[70:71], -v[72:73]
	;; [unrolled: 2-line block ×3, first 2 shown]
	v_add_f64 v[64:65], v[64:65], -v[72:73]
	v_add_f64 v[68:69], v[70:71], -v[68:69]
	v_add_f64 v[64:65], v[64:65], v[74:75]
	v_add_f64 v[66:67], v[66:67], -v[68:69]
	v_add_f64 v[64:65], v[64:65], v[66:67]
	v_add_f64 v[66:67], v[70:71], v[64:65]
	v_add_f64 v[68:69], v[66:67], -v[70:71]
	v_cmp_lt_f64_e32 vcc, 0, v[58:59]
	v_add_f64 v[64:65], v[64:65], -v[68:69]
	v_mul_f64 v[68:69], v[46:47], v[66:67]
	v_cndmask_b32_e64 v63, 0, 1, vcc
	v_cmp_gt_f64_e32 vcc, 0, v[58:59]
	v_fma_f64 v[66:67], v[46:47], v[66:67], -v[68:69]
	v_fmac_f64_e32 v[66:67], v[46:47], v[64:65]
	v_subbrev_co_u32_e32 v58, vcc, 0, v63, vcc
	v_add_f64 v[64:65], v[68:69], v[66:67]
	v_cmp_class_f64_e64 vcc, v[68:69], s44
	v_add_f64 v[70:71], v[64:65], -v[68:69]
	v_add_f64 v[66:67], v[66:67], -v[70:71]
	v_cndmask_b32_e32 v65, v65, v69, vcc
	v_cndmask_b32_e32 v64, v64, v68, vcc
	v_mul_f64 v[68:69], v[64:65], s[30:31]
	v_rndne_f64_e32 v[68:69], v[68:69]
	v_fma_f64 v[70:71], s[34:35], v[68:69], v[64:65]
	v_fmac_f64_e32 v[70:71], s[36:37], v[68:69]
	v_mov_b64_e32 v[72:73], v[20:21]
	v_fmac_f64_e32 v[72:73], s[38:39], v[70:71]
	v_mov_b64_e32 v[74:75], v[22:23]
	;; [unrolled: 2-line block ×9, first 2 shown]
	v_fmac_f64_e32 v[72:73], v[70:71], v[74:75]
	v_fma_f64 v[72:73], v[70:71], v[72:73], 1.0
	v_cmp_neq_f64_e64 vcc, |v[64:65]|, s[28:29]
	v_fma_f64 v[70:71], v[70:71], v[72:73], 1.0
	v_cvt_i32_f64_e32 v63, v[68:69]
	v_cndmask_b32_e32 v67, 0, v67, vcc
	v_cndmask_b32_e32 v66, 0, v66, vcc
	v_ldexp_f64 v[68:69], v[70:71], v63
	v_cmp_nlt_f64_e32 vcc, s[40:41], v[64:65]
	v_cmp_ngt_f64_e64 s[2:3], s[42:43], v[64:65]
	v_cmp_eq_f64_e64 s[46:47], |v[56:57]|, 0
	v_cndmask_b32_e32 v63, v61, v69, vcc
	s_and_b64 vcc, s[2:3], vcc
	v_cndmask_b32_e64 v65, 0, v63, s[2:3]
	v_cndmask_b32_e32 v64, 0, v68, vcc
	v_mov_b64_e32 v[68:69], v[64:65]
	v_cmp_neq_f64_e64 s[2:3], v[46:47], |v[46:47]|
	v_fmac_f64_e32 v[68:69], v[68:69], v[66:67]
	v_cmp_class_f64_e64 vcc, v[64:65], s44
	s_xor_b64 s[2:3], s[2:3], s[24:25]
	v_cmp_class_f64_e64 s[24:25], v[56:57], s44
	v_cndmask_b32_e32 v63, v69, v65, vcc
	v_cndmask_b32_e32 v64, v68, v64, vcc
	v_cndmask_b32_e64 v65, v61, 0, s[2:3]
	v_cmp_neq_f64_e64 vcc, |v[56:57]|, 1.0
	v_cmp_gt_f64_e64 s[2:3], 0, v[46:47]
	v_and_b32_e32 v63, 0x7fffffff, v63
	v_cndmask_b32_e32 v65, v60, v65, vcc
	v_cmp_class_f64_e64 vcc, v[46:47], s44
	s_xor_b64 s[2:3], s[2:3], s[46:47]
	v_cvt_f64_i32_e32 v[58:59], v58
	v_cndmask_b32_e32 v63, v63, v65, vcc
	v_cndmask_b32_e64 v65, v61, 0, s[2:3]
	s_or_b64 s[2:3], s[46:47], s[24:25]
	v_cndmask_b32_e64 v63, v63, v65, s[2:3]
	s_or_b64 s[2:3], s[2:3], vcc
	v_cndmask_b32_e64 v64, v64, 0, s[2:3]
	v_cmp_o_f64_e64 vcc, |v[56:57]|, v[46:47]
	s_nop 1
	v_cndmask_b32_e32 v46, 0, v64, vcc
	v_cndmask_b32_e32 v47, v62, v63, vcc
	v_mul_f64 v[46:47], v[46:47], v[58:59]
	v_mul_f64 v[46:47], v[40:41], v[46:47]
	v_div_scale_f64 v[56:57], s[2:3], v[32:33], v[32:33], v[46:47]
	v_rcp_f64_e32 v[58:59], v[56:57]
	s_nop 0
	v_fma_f64 v[64:65], -v[56:57], v[58:59], 1.0
	v_fmac_f64_e32 v[58:59], v[58:59], v[64:65]
	v_fma_f64 v[64:65], -v[56:57], v[58:59], 1.0
	v_fmac_f64_e32 v[58:59], v[58:59], v[64:65]
	v_div_scale_f64 v[64:65], vcc, v[46:47], v[32:33], v[46:47]
	v_mul_f64 v[66:67], v[64:65], v[58:59]
	v_fma_f64 v[56:57], -v[56:57], v[66:67], v[64:65]
	s_nop 1
	v_div_fmas_f64 v[56:57], v[56:57], v[58:59], v[66:67]
	v_div_fixup_f64 v[46:47], v[56:57], v[32:33], v[46:47]
	s_branch .LBB22_3
.LBB22_6:
	s_endpgm
	.section	.rodata,"a",@progbits
	.p2align	6, 0x0
	.amdhsa_kernel _ZN2at6native12_GLOBAL__N_131pdist_backward_kernel_cuda_implIdNS1_5distsIdE6lt_twoEEEvPT_PKS6_S9_S9_llllS6_dd
		.amdhsa_group_segment_fixed_size 0
		.amdhsa_private_segment_fixed_size 0
		.amdhsa_kernarg_size 344
		.amdhsa_user_sgpr_count 2
		.amdhsa_user_sgpr_dispatch_ptr 0
		.amdhsa_user_sgpr_queue_ptr 0
		.amdhsa_user_sgpr_kernarg_segment_ptr 1
		.amdhsa_user_sgpr_dispatch_id 0
		.amdhsa_user_sgpr_kernarg_preload_length 0
		.amdhsa_user_sgpr_kernarg_preload_offset 0
		.amdhsa_user_sgpr_private_segment_size 0
		.amdhsa_uses_dynamic_stack 0
		.amdhsa_enable_private_segment 0
		.amdhsa_system_sgpr_workgroup_id_x 1
		.amdhsa_system_sgpr_workgroup_id_y 1
		.amdhsa_system_sgpr_workgroup_id_z 0
		.amdhsa_system_sgpr_workgroup_info 0
		.amdhsa_system_vgpr_workitem_id 1
		.amdhsa_next_free_vgpr 86
		.amdhsa_next_free_sgpr 48
		.amdhsa_accum_offset 88
		.amdhsa_reserve_vcc 1
		.amdhsa_float_round_mode_32 0
		.amdhsa_float_round_mode_16_64 0
		.amdhsa_float_denorm_mode_32 3
		.amdhsa_float_denorm_mode_16_64 3
		.amdhsa_dx10_clamp 1
		.amdhsa_ieee_mode 1
		.amdhsa_fp16_overflow 0
		.amdhsa_tg_split 0
		.amdhsa_exception_fp_ieee_invalid_op 0
		.amdhsa_exception_fp_denorm_src 0
		.amdhsa_exception_fp_ieee_div_zero 0
		.amdhsa_exception_fp_ieee_overflow 0
		.amdhsa_exception_fp_ieee_underflow 0
		.amdhsa_exception_fp_ieee_inexact 0
		.amdhsa_exception_int_div_zero 0
	.end_amdhsa_kernel
	.section	.text._ZN2at6native12_GLOBAL__N_131pdist_backward_kernel_cuda_implIdNS1_5distsIdE6lt_twoEEEvPT_PKS6_S9_S9_llllS6_dd,"axG",@progbits,_ZN2at6native12_GLOBAL__N_131pdist_backward_kernel_cuda_implIdNS1_5distsIdE6lt_twoEEEvPT_PKS6_S9_S9_llllS6_dd,comdat
.Lfunc_end22:
	.size	_ZN2at6native12_GLOBAL__N_131pdist_backward_kernel_cuda_implIdNS1_5distsIdE6lt_twoEEEvPT_PKS6_S9_S9_llllS6_dd, .Lfunc_end22-_ZN2at6native12_GLOBAL__N_131pdist_backward_kernel_cuda_implIdNS1_5distsIdE6lt_twoEEEvPT_PKS6_S9_S9_llllS6_dd
                                        ; -- End function
	.set _ZN2at6native12_GLOBAL__N_131pdist_backward_kernel_cuda_implIdNS1_5distsIdE6lt_twoEEEvPT_PKS6_S9_S9_llllS6_dd.num_vgpr, 86
	.set _ZN2at6native12_GLOBAL__N_131pdist_backward_kernel_cuda_implIdNS1_5distsIdE6lt_twoEEEvPT_PKS6_S9_S9_llllS6_dd.num_agpr, 0
	.set _ZN2at6native12_GLOBAL__N_131pdist_backward_kernel_cuda_implIdNS1_5distsIdE6lt_twoEEEvPT_PKS6_S9_S9_llllS6_dd.numbered_sgpr, 48
	.set _ZN2at6native12_GLOBAL__N_131pdist_backward_kernel_cuda_implIdNS1_5distsIdE6lt_twoEEEvPT_PKS6_S9_S9_llllS6_dd.num_named_barrier, 0
	.set _ZN2at6native12_GLOBAL__N_131pdist_backward_kernel_cuda_implIdNS1_5distsIdE6lt_twoEEEvPT_PKS6_S9_S9_llllS6_dd.private_seg_size, 0
	.set _ZN2at6native12_GLOBAL__N_131pdist_backward_kernel_cuda_implIdNS1_5distsIdE6lt_twoEEEvPT_PKS6_S9_S9_llllS6_dd.uses_vcc, 1
	.set _ZN2at6native12_GLOBAL__N_131pdist_backward_kernel_cuda_implIdNS1_5distsIdE6lt_twoEEEvPT_PKS6_S9_S9_llllS6_dd.uses_flat_scratch, 0
	.set _ZN2at6native12_GLOBAL__N_131pdist_backward_kernel_cuda_implIdNS1_5distsIdE6lt_twoEEEvPT_PKS6_S9_S9_llllS6_dd.has_dyn_sized_stack, 0
	.set _ZN2at6native12_GLOBAL__N_131pdist_backward_kernel_cuda_implIdNS1_5distsIdE6lt_twoEEEvPT_PKS6_S9_S9_llllS6_dd.has_recursion, 0
	.set _ZN2at6native12_GLOBAL__N_131pdist_backward_kernel_cuda_implIdNS1_5distsIdE6lt_twoEEEvPT_PKS6_S9_S9_llllS6_dd.has_indirect_call, 0
	.section	.AMDGPU.csdata,"",@progbits
; Kernel info:
; codeLenInByte = 4240
; TotalNumSgprs: 54
; NumVgprs: 86
; NumAgprs: 0
; TotalNumVgprs: 86
; ScratchSize: 0
; MemoryBound: 0
; FloatMode: 240
; IeeeMode: 1
; LDSByteSize: 0 bytes/workgroup (compile time only)
; SGPRBlocks: 6
; VGPRBlocks: 10
; NumSGPRsForWavesPerEU: 54
; NumVGPRsForWavesPerEU: 86
; AccumOffset: 88
; Occupancy: 5
; WaveLimiterHint : 0
; COMPUTE_PGM_RSRC2:SCRATCH_EN: 0
; COMPUTE_PGM_RSRC2:USER_SGPR: 2
; COMPUTE_PGM_RSRC2:TRAP_HANDLER: 0
; COMPUTE_PGM_RSRC2:TGID_X_EN: 1
; COMPUTE_PGM_RSRC2:TGID_Y_EN: 1
; COMPUTE_PGM_RSRC2:TGID_Z_EN: 0
; COMPUTE_PGM_RSRC2:TIDIG_COMP_CNT: 1
; COMPUTE_PGM_RSRC3_GFX90A:ACCUM_OFFSET: 21
; COMPUTE_PGM_RSRC3_GFX90A:TG_SPLIT: 0
	.section	.text._ZN2at6native12_GLOBAL__N_131pdist_backward_kernel_cuda_implIdNS1_5distsIdE3twoEEEvPT_PKS6_S9_S9_llllS6_dd,"axG",@progbits,_ZN2at6native12_GLOBAL__N_131pdist_backward_kernel_cuda_implIdNS1_5distsIdE3twoEEEvPT_PKS6_S9_S9_llllS6_dd,comdat
	.globl	_ZN2at6native12_GLOBAL__N_131pdist_backward_kernel_cuda_implIdNS1_5distsIdE3twoEEEvPT_PKS6_S9_S9_llllS6_dd ; -- Begin function _ZN2at6native12_GLOBAL__N_131pdist_backward_kernel_cuda_implIdNS1_5distsIdE3twoEEEvPT_PKS6_S9_S9_llllS6_dd
	.p2align	8
	.type	_ZN2at6native12_GLOBAL__N_131pdist_backward_kernel_cuda_implIdNS1_5distsIdE3twoEEEvPT_PKS6_S9_S9_llllS6_dd,@function
_ZN2at6native12_GLOBAL__N_131pdist_backward_kernel_cuda_implIdNS1_5distsIdE3twoEEEvPT_PKS6_S9_S9_llllS6_dd: ; @_ZN2at6native12_GLOBAL__N_131pdist_backward_kernel_cuda_implIdNS1_5distsIdE3twoEEEvPT_PKS6_S9_S9_llllS6_dd
; %bb.0:
	s_load_dwordx16 s[4:19], s[0:1], 0x0
	s_load_dword s20, s[0:1], 0x64
	s_add_u32 s24, s0, 0x58
	s_addc_u32 s25, s1, 0
	v_and_b32_e32 v2, 0x3ff, v0
	v_mov_b32_e32 v3, 0
	s_waitcnt lgkmcnt(0)
	s_and_b32 s21, s20, 0xffff
	v_mov_b32_e32 v1, s2
	v_mad_u64_u32 v[4:5], s[22:23], s21, v1, v[2:3]
	v_cmp_gt_i64_e32 vcc, s[18:19], v[4:5]
	s_and_saveexec_b64 s[18:19], vcc
	s_cbranch_execz .LBB23_6
; %bb.1:
	s_lshr_b32 s2, s20, 16
	s_mul_i32 s3, s3, s2
	v_bfe_u32 v0, v0, 10, 10
	v_add_u32_e32 v10, s3, v0
	v_ashrrev_i32_e32 v11, 31, v10
	v_cmp_gt_i64_e32 vcc, s[16:17], v[10:11]
	s_and_b64 exec, exec, vcc
	s_cbranch_execz .LBB23_6
; %bb.2:
	s_load_dwordx4 s[20:23], s[0:1], 0x48
	v_lshlrev_b64 v[0:1], 1, v[4:5]
	v_cvt_f64_u32_e32 v[6:7], v1
	v_ldexp_f64 v[6:7], v[6:7], 32
	v_cvt_f64_u32_e32 v[0:1], v0
	v_add_f64 v[0:1], v[6:7], v[0:1]
	s_mov_b32 s0, 0
	s_waitcnt lgkmcnt(0)
	v_add_f64 v[0:1], s[22:23], -v[0:1]
	s_brev_b32 s1, 8
	v_mov_b32_e32 v6, 0x100
	v_cmp_gt_f64_e32 vcc, s[0:1], v[0:1]
	v_mov_b32_e32 v8, s10
	v_mov_b32_e32 v9, s11
	v_cndmask_b32_e32 v6, 0, v6, vcc
	v_ldexp_f64 v[6:7], v[0:1], v6
	v_rsq_f64_e32 v[0:1], v[6:7]
	v_mov_b32_e32 v2, s6
	v_mov_b32_e32 v3, s7
	;; [unrolled: 1-line block ×3, first 2 shown]
	v_mul_f64 v[12:13], v[6:7], v[0:1]
	v_mul_f64 v[0:1], v[0:1], 0.5
	v_fma_f64 v[14:15], -v[0:1], v[12:13], 0.5
	v_fmac_f64_e32 v[12:13], v[12:13], v[14:15]
	v_fma_f64 v[16:17], -v[12:13], v[12:13], v[6:7]
	v_fmac_f64_e32 v[0:1], v[0:1], v[14:15]
	v_fmac_f64_e32 v[12:13], v[16:17], v[0:1]
	v_fma_f64 v[14:15], -v[12:13], v[12:13], v[6:7]
	v_fmac_f64_e32 v[12:13], v[14:15], v[0:1]
	v_mov_b32_e32 v0, 0xffffff80
	v_cndmask_b32_e32 v0, 0, v0, vcc
	v_mov_b32_e32 v14, 0x260
	v_ldexp_f64 v[12:13], v[12:13], v0
	v_cmp_class_f64_e32 vcc, v[6:7], v14
	v_lshl_add_u64 v[0:1], v[4:5], 3, v[8:9]
	v_mul_lo_u32 v14, v4, s13
	v_cndmask_b32_e32 v7, v13, v7, vcc
	v_mul_lo_u32 v13, v5, s12
	v_mad_u64_u32 v[8:9], s[0:1], v4, s12, 0
	v_add3_u32 v9, v9, v14, v13
	global_load_dwordx2 v[0:1], v[0:1], off
	v_lshl_add_u64 v[2:3], v[8:9], 3, v[2:3]
	global_load_dwordx2 v[2:3], v[2:3], off
	v_cndmask_b32_e32 v6, v12, v6, vcc
	v_add_f64 v[6:7], s[20:21], -v[6:7]
	v_trunc_f64_e32 v[6:7], v[6:7]
	s_movk_i32 s0, 0xffe0
	v_ldexp_f64 v[8:9], v[6:7], s0
	v_floor_f64_e32 v[8:9], v[8:9]
	v_fmac_f64_e32 v[6:7], 0xc1f00000, v[8:9]
	v_cvt_u32_f64_e32 v14, v[6:7]
	v_cvt_i32_f64_e32 v15, v[8:9]
	v_lshl_add_u64 v[16:17], v[14:15], 0, 1
	v_mul_lo_u32 v20, v17, v14
	v_mul_hi_u32 v18, v16, v14
	v_mul_lo_u32 v21, v16, v15
	v_add3_u32 v18, v18, v21, v20
	v_lshrrev_b32_e32 v18, 31, v18
	v_mad_u64_u32 v[18:19], s[0:1], v16, v14, v[18:19]
	v_add3_u32 v19, v20, v19, v21
	v_mul_lo_u32 v22, s15, v14
	v_mad_u64_u32 v[20:21], s[0:1], s14, v14, 0
	v_mul_lo_u32 v23, s14, v15
	v_add3_u32 v21, v21, v23, v22
	v_sub_co_u32_e32 v4, vcc, v4, v20
	v_ashrrev_i64 v[18:19], 1, v[18:19]
	s_nop 0
	v_subb_co_u32_e32 v5, vcc, v5, v21, vcc
	v_lshl_add_u64 v[4:5], v[18:19], 0, v[4:5]
	v_mov_b32_e32 v19, s15
	v_sub_co_u32_e32 v18, vcc, s14, v14
	v_lshl_add_u64 v[16:17], v[16:17], 0, v[4:5]
	s_nop 0
	v_subb_co_u32_e32 v19, vcc, v19, v15, vcc
	v_lshl_add_u64 v[18:19], v[18:19], 0, -2
	v_mad_u64_u32 v[20:21], s[0:1], v18, s14, v[16:17]
	v_mul_lo_u32 v18, v18, s15
	v_mul_lo_u32 v19, v19, s14
	s_load_dword s3, s[24:25], 0x4
	v_add3_u32 v18, v19, v21, v18
	v_mul_lo_u32 v19, v4, s15
	v_mul_lo_u32 v21, v5, s14
	v_mad_u64_u32 v[4:5], s[0:1], v4, s14, v[14:15]
	v_add3_u32 v5, v21, v5, v19
	v_mul_lo_u32 v8, s17, v14
	v_mad_u64_u32 v[6:7], s[0:1], s16, v14, 0
	v_mul_lo_u32 v9, s16, v15
	v_mul_lo_u32 v14, v5, s16
	;; [unrolled: 1-line block ×3, first 2 shown]
	v_mad_u64_u32 v[4:5], s[0:1], v4, s16, 0
	v_add3_u32 v5, v5, v15, v14
	v_mul_lo_u32 v17, v17, s16
	v_mul_lo_u32 v19, v16, s17
	v_mad_u64_u32 v[14:15], s[0:1], v16, s16, 0
	v_add3_u32 v7, v7, v9, v8
	v_add3_u32 v15, v15, v19, v17
	v_lshl_add_u64 v[6:7], v[6:7], 3, s[8:9]
	s_waitcnt lgkmcnt(0)
	s_mul_i32 s2, s3, s2
	v_lshl_add_u64 v[14:15], v[14:15], 3, s[8:9]
	v_mul_lo_u32 v19, s17, v20
	v_mul_lo_u32 v18, s16, v18
	v_mad_u64_u32 v[16:17], s[8:9], s16, v20, 0
	v_lshlrev_b64 v[10:11], 3, v[10:11]
	s_ashr_i32 s3, s2, 31
	v_add3_u32 v17, v17, v18, v19
	v_lshl_add_u64 v[8:9], s[16:17], 3, v[6:7]
	v_lshl_add_u64 v[12:13], v[6:7], 0, v[10:11]
	;; [unrolled: 1-line block ×3, first 2 shown]
	s_mov_b64 s[6:7], 0
	v_lshl_add_u64 v[16:17], v[16:17], 3, s[4:5]
	s_waitcnt vmcnt(1)
	v_cmp_neq_f64_e64 s[0:1], 0, v[0:1]
	s_lshl_b64 s[4:5], s[2:3], 3
	s_branch .LBB23_4
.LBB23_3:                               ;   in Loop: Header=BB23_4 Depth=1
	s_or_b64 exec, exec, s[8:9]
	v_lshl_add_u64 v[12:13], s[2:3], 3, v[12:13]
	v_lshl_add_u64 v[22:23], v[4:5], 0, v[10:11]
	v_cmp_ge_u64_e32 vcc, v[12:13], v[8:9]
	v_lshl_add_u64 v[20:21], v[16:17], 0, v[10:11]
	global_store_dwordx2 v[22:23], v[18:19], off
	v_xor_b32_e32 v19, 0x80000000, v19
	s_or_b64 s[6:7], vcc, s[6:7]
	v_lshl_add_u64 v[10:11], v[10:11], 0, s[4:5]
	global_store_dwordx2 v[20:21], v[18:19], off
	s_andn2_b64 exec, exec, s[6:7]
	s_cbranch_execz .LBB23_6
.LBB23_4:                               ; =>This Inner Loop Header: Depth=1
	v_mov_b64_e32 v[18:19], 0
	s_and_saveexec_b64 s[8:9], s[0:1]
	s_cbranch_execz .LBB23_3
; %bb.5:                                ;   in Loop: Header=BB23_4 Depth=1
	v_lshl_add_u64 v[20:21], v[6:7], 0, v[10:11]
	v_lshl_add_u64 v[18:19], v[14:15], 0, v[10:11]
	global_load_dwordx2 v[22:23], v[20:21], off
	global_load_dwordx2 v[24:25], v[18:19], off
	s_waitcnt vmcnt(0)
	v_add_f64 v[18:19], v[22:23], -v[24:25]
	v_mul_f64 v[18:19], v[2:3], v[18:19]
	v_div_scale_f64 v[20:21], s[10:11], v[0:1], v[0:1], v[18:19]
	v_rcp_f64_e32 v[22:23], v[20:21]
	v_div_scale_f64 v[24:25], vcc, v[18:19], v[0:1], v[18:19]
	v_fma_f64 v[26:27], -v[20:21], v[22:23], 1.0
	v_fmac_f64_e32 v[22:23], v[22:23], v[26:27]
	v_fma_f64 v[26:27], -v[20:21], v[22:23], 1.0
	v_fmac_f64_e32 v[22:23], v[22:23], v[26:27]
	v_mul_f64 v[26:27], v[24:25], v[22:23]
	v_fma_f64 v[20:21], -v[20:21], v[26:27], v[24:25]
	v_div_fmas_f64 v[20:21], v[20:21], v[22:23], v[26:27]
	v_div_fixup_f64 v[18:19], v[20:21], v[0:1], v[18:19]
	s_branch .LBB23_3
.LBB23_6:
	s_endpgm
	.section	.rodata,"a",@progbits
	.p2align	6, 0x0
	.amdhsa_kernel _ZN2at6native12_GLOBAL__N_131pdist_backward_kernel_cuda_implIdNS1_5distsIdE3twoEEEvPT_PKS6_S9_S9_llllS6_dd
		.amdhsa_group_segment_fixed_size 0
		.amdhsa_private_segment_fixed_size 0
		.amdhsa_kernarg_size 344
		.amdhsa_user_sgpr_count 2
		.amdhsa_user_sgpr_dispatch_ptr 0
		.amdhsa_user_sgpr_queue_ptr 0
		.amdhsa_user_sgpr_kernarg_segment_ptr 1
		.amdhsa_user_sgpr_dispatch_id 0
		.amdhsa_user_sgpr_kernarg_preload_length 0
		.amdhsa_user_sgpr_kernarg_preload_offset 0
		.amdhsa_user_sgpr_private_segment_size 0
		.amdhsa_uses_dynamic_stack 0
		.amdhsa_enable_private_segment 0
		.amdhsa_system_sgpr_workgroup_id_x 1
		.amdhsa_system_sgpr_workgroup_id_y 1
		.amdhsa_system_sgpr_workgroup_id_z 0
		.amdhsa_system_sgpr_workgroup_info 0
		.amdhsa_system_vgpr_workitem_id 1
		.amdhsa_next_free_vgpr 28
		.amdhsa_next_free_sgpr 26
		.amdhsa_accum_offset 28
		.amdhsa_reserve_vcc 1
		.amdhsa_float_round_mode_32 0
		.amdhsa_float_round_mode_16_64 0
		.amdhsa_float_denorm_mode_32 3
		.amdhsa_float_denorm_mode_16_64 3
		.amdhsa_dx10_clamp 1
		.amdhsa_ieee_mode 1
		.amdhsa_fp16_overflow 0
		.amdhsa_tg_split 0
		.amdhsa_exception_fp_ieee_invalid_op 0
		.amdhsa_exception_fp_denorm_src 0
		.amdhsa_exception_fp_ieee_div_zero 0
		.amdhsa_exception_fp_ieee_overflow 0
		.amdhsa_exception_fp_ieee_underflow 0
		.amdhsa_exception_fp_ieee_inexact 0
		.amdhsa_exception_int_div_zero 0
	.end_amdhsa_kernel
	.section	.text._ZN2at6native12_GLOBAL__N_131pdist_backward_kernel_cuda_implIdNS1_5distsIdE3twoEEEvPT_PKS6_S9_S9_llllS6_dd,"axG",@progbits,_ZN2at6native12_GLOBAL__N_131pdist_backward_kernel_cuda_implIdNS1_5distsIdE3twoEEEvPT_PKS6_S9_S9_llllS6_dd,comdat
.Lfunc_end23:
	.size	_ZN2at6native12_GLOBAL__N_131pdist_backward_kernel_cuda_implIdNS1_5distsIdE3twoEEEvPT_PKS6_S9_S9_llllS6_dd, .Lfunc_end23-_ZN2at6native12_GLOBAL__N_131pdist_backward_kernel_cuda_implIdNS1_5distsIdE3twoEEEvPT_PKS6_S9_S9_llllS6_dd
                                        ; -- End function
	.set _ZN2at6native12_GLOBAL__N_131pdist_backward_kernel_cuda_implIdNS1_5distsIdE3twoEEEvPT_PKS6_S9_S9_llllS6_dd.num_vgpr, 28
	.set _ZN2at6native12_GLOBAL__N_131pdist_backward_kernel_cuda_implIdNS1_5distsIdE3twoEEEvPT_PKS6_S9_S9_llllS6_dd.num_agpr, 0
	.set _ZN2at6native12_GLOBAL__N_131pdist_backward_kernel_cuda_implIdNS1_5distsIdE3twoEEEvPT_PKS6_S9_S9_llllS6_dd.numbered_sgpr, 26
	.set _ZN2at6native12_GLOBAL__N_131pdist_backward_kernel_cuda_implIdNS1_5distsIdE3twoEEEvPT_PKS6_S9_S9_llllS6_dd.num_named_barrier, 0
	.set _ZN2at6native12_GLOBAL__N_131pdist_backward_kernel_cuda_implIdNS1_5distsIdE3twoEEEvPT_PKS6_S9_S9_llllS6_dd.private_seg_size, 0
	.set _ZN2at6native12_GLOBAL__N_131pdist_backward_kernel_cuda_implIdNS1_5distsIdE3twoEEEvPT_PKS6_S9_S9_llllS6_dd.uses_vcc, 1
	.set _ZN2at6native12_GLOBAL__N_131pdist_backward_kernel_cuda_implIdNS1_5distsIdE3twoEEEvPT_PKS6_S9_S9_llllS6_dd.uses_flat_scratch, 0
	.set _ZN2at6native12_GLOBAL__N_131pdist_backward_kernel_cuda_implIdNS1_5distsIdE3twoEEEvPT_PKS6_S9_S9_llllS6_dd.has_dyn_sized_stack, 0
	.set _ZN2at6native12_GLOBAL__N_131pdist_backward_kernel_cuda_implIdNS1_5distsIdE3twoEEEvPT_PKS6_S9_S9_llllS6_dd.has_recursion, 0
	.set _ZN2at6native12_GLOBAL__N_131pdist_backward_kernel_cuda_implIdNS1_5distsIdE3twoEEEvPT_PKS6_S9_S9_llllS6_dd.has_indirect_call, 0
	.section	.AMDGPU.csdata,"",@progbits
; Kernel info:
; codeLenInByte = 1092
; TotalNumSgprs: 32
; NumVgprs: 28
; NumAgprs: 0
; TotalNumVgprs: 28
; ScratchSize: 0
; MemoryBound: 0
; FloatMode: 240
; IeeeMode: 1
; LDSByteSize: 0 bytes/workgroup (compile time only)
; SGPRBlocks: 3
; VGPRBlocks: 3
; NumSGPRsForWavesPerEU: 32
; NumVGPRsForWavesPerEU: 28
; AccumOffset: 28
; Occupancy: 8
; WaveLimiterHint : 0
; COMPUTE_PGM_RSRC2:SCRATCH_EN: 0
; COMPUTE_PGM_RSRC2:USER_SGPR: 2
; COMPUTE_PGM_RSRC2:TRAP_HANDLER: 0
; COMPUTE_PGM_RSRC2:TGID_X_EN: 1
; COMPUTE_PGM_RSRC2:TGID_Y_EN: 1
; COMPUTE_PGM_RSRC2:TGID_Z_EN: 0
; COMPUTE_PGM_RSRC2:TIDIG_COMP_CNT: 1
; COMPUTE_PGM_RSRC3_GFX90A:ACCUM_OFFSET: 6
; COMPUTE_PGM_RSRC3_GFX90A:TG_SPLIT: 0
	.section	.text._ZN2at6native12_GLOBAL__N_131pdist_backward_kernel_cuda_implIdNS1_5distsIdE3infEEEvPT_PKS6_S9_S9_llllS6_dd,"axG",@progbits,_ZN2at6native12_GLOBAL__N_131pdist_backward_kernel_cuda_implIdNS1_5distsIdE3infEEEvPT_PKS6_S9_S9_llllS6_dd,comdat
	.globl	_ZN2at6native12_GLOBAL__N_131pdist_backward_kernel_cuda_implIdNS1_5distsIdE3infEEEvPT_PKS6_S9_S9_llllS6_dd ; -- Begin function _ZN2at6native12_GLOBAL__N_131pdist_backward_kernel_cuda_implIdNS1_5distsIdE3infEEEvPT_PKS6_S9_S9_llllS6_dd
	.p2align	8
	.type	_ZN2at6native12_GLOBAL__N_131pdist_backward_kernel_cuda_implIdNS1_5distsIdE3infEEEvPT_PKS6_S9_S9_llllS6_dd,@function
_ZN2at6native12_GLOBAL__N_131pdist_backward_kernel_cuda_implIdNS1_5distsIdE3infEEEvPT_PKS6_S9_S9_llllS6_dd: ; @_ZN2at6native12_GLOBAL__N_131pdist_backward_kernel_cuda_implIdNS1_5distsIdE3infEEEvPT_PKS6_S9_S9_llllS6_dd
; %bb.0:
	s_load_dwordx16 s[4:19], s[0:1], 0x0
	s_load_dword s20, s[0:1], 0x64
	s_add_u32 s24, s0, 0x58
	s_addc_u32 s25, s1, 0
	v_and_b32_e32 v2, 0x3ff, v0
	v_mov_b32_e32 v3, 0
	s_waitcnt lgkmcnt(0)
	s_and_b32 s21, s20, 0xffff
	v_mov_b32_e32 v1, s2
	v_mad_u64_u32 v[4:5], s[22:23], s21, v1, v[2:3]
	v_cmp_gt_i64_e32 vcc, s[18:19], v[4:5]
	s_and_saveexec_b64 s[18:19], vcc
	s_cbranch_execz .LBB24_4
; %bb.1:
	s_lshr_b32 s2, s20, 16
	s_mul_i32 s3, s3, s2
	v_bfe_u32 v0, v0, 10, 10
	v_add_u32_e32 v10, s3, v0
	v_ashrrev_i32_e32 v11, 31, v10
	v_cmp_gt_i64_e32 vcc, s[16:17], v[10:11]
	s_and_b64 exec, exec, vcc
	s_cbranch_execz .LBB24_4
; %bb.2:
	s_load_dwordx4 s[20:23], s[0:1], 0x48
	v_lshlrev_b64 v[2:3], 1, v[4:5]
	v_cvt_f64_u32_e32 v[6:7], v3
	v_ldexp_f64 v[6:7], v[6:7], 32
	v_cvt_f64_u32_e32 v[2:3], v2
	v_add_f64 v[2:3], v[6:7], v[2:3]
	s_mov_b32 s0, 0
	s_waitcnt lgkmcnt(0)
	v_add_f64 v[2:3], s[22:23], -v[2:3]
	s_brev_b32 s1, 8
	v_mov_b32_e32 v6, 0x100
	v_cmp_gt_f64_e32 vcc, s[0:1], v[2:3]
	v_mov_b32_e32 v0, s6
	v_mov_b32_e32 v1, s7
	v_cndmask_b32_e32 v6, 0, v6, vcc
	v_ldexp_f64 v[2:3], v[2:3], v6
	v_rsq_f64_e32 v[6:7], v[2:3]
	v_mov_b32_e32 v8, s10
	v_mov_b32_e32 v9, s11
	s_load_dword s3, s[24:25], 0x4
	v_mul_f64 v[12:13], v[2:3], v[6:7]
	v_mul_f64 v[6:7], v[6:7], 0.5
	v_fma_f64 v[14:15], -v[6:7], v[12:13], 0.5
	v_fmac_f64_e32 v[12:13], v[12:13], v[14:15]
	v_fma_f64 v[16:17], -v[12:13], v[12:13], v[2:3]
	v_fmac_f64_e32 v[6:7], v[6:7], v[14:15]
	v_fmac_f64_e32 v[12:13], v[16:17], v[6:7]
	v_fma_f64 v[14:15], -v[12:13], v[12:13], v[2:3]
	v_fmac_f64_e32 v[12:13], v[14:15], v[6:7]
	v_mov_b32_e32 v6, 0xffffff80
	v_cndmask_b32_e32 v6, 0, v6, vcc
	v_ldexp_f64 v[6:7], v[12:13], v6
	v_mov_b32_e32 v12, 0x260
	v_cmp_class_f64_e32 vcc, v[2:3], v12
	v_mul_lo_u32 v12, v5, s12
	v_mul_lo_u32 v13, v4, s13
	v_cndmask_b32_e32 v7, v7, v3, vcc
	v_cndmask_b32_e32 v6, v6, v2, vcc
	v_mad_u64_u32 v[2:3], s[0:1], v4, s12, 0
	v_add3_u32 v3, v3, v13, v12
	v_lshl_add_u64 v[0:1], v[2:3], 3, v[0:1]
	v_lshl_add_u64 v[2:3], v[4:5], 3, v[8:9]
	global_load_dwordx2 v[0:1], v[0:1], off
	v_add_f64 v[6:7], s[20:21], -v[6:7]
	global_load_dwordx2 v[2:3], v[2:3], off
	v_trunc_f64_e32 v[6:7], v[6:7]
	s_movk_i32 s0, 0xffe0
	v_ldexp_f64 v[8:9], v[6:7], s0
	v_floor_f64_e32 v[8:9], v[8:9]
	v_fmac_f64_e32 v[6:7], 0xc1f00000, v[8:9]
	v_cvt_u32_f64_e32 v16, v[6:7]
	v_cvt_i32_f64_e32 v17, v[8:9]
	v_lshl_add_u64 v[18:19], v[16:17], 0, 1
	v_mul_lo_u32 v15, v19, v16
	v_mul_hi_u32 v14, v18, v16
	v_mul_lo_u32 v22, v18, v17
	v_add3_u32 v14, v14, v22, v15
	v_lshrrev_b32_e32 v20, 31, v14
	v_mov_b32_e32 v14, 0
	v_mad_u64_u32 v[6:7], s[0:1], s16, v16, 0
	v_mov_b32_e32 v21, v14
	s_waitcnt lgkmcnt(0)
	s_mul_i32 s0, s3, s2
	v_mad_u64_u32 v[20:21], s[2:3], v18, v16, v[20:21]
	v_add3_u32 v21, v15, v21, v22
	v_mul_lo_u32 v15, s15, v16
	v_mad_u64_u32 v[22:23], s[2:3], s14, v16, 0
	v_mul_lo_u32 v24, s14, v17
	v_add3_u32 v15, v23, v24, v15
	v_sub_co_u32_e32 v4, vcc, v4, v22
	v_ashrrev_i64 v[20:21], 1, v[20:21]
	s_nop 0
	v_subb_co_u32_e32 v5, vcc, v5, v15, vcc
	v_lshl_add_u64 v[4:5], v[20:21], 0, v[4:5]
	v_mov_b32_e32 v15, s15
	v_sub_co_u32_e32 v20, vcc, s14, v16
	v_lshl_add_u64 v[18:19], v[18:19], 0, v[4:5]
	s_nop 0
	v_subb_co_u32_e32 v21, vcc, v15, v17, vcc
	v_lshl_add_u64 v[20:21], v[20:21], 0, -2
	v_mad_u64_u32 v[22:23], s[2:3], v20, s14, v[18:19]
	v_mul_lo_u32 v15, v20, s15
	v_mul_lo_u32 v20, v21, s14
	v_add3_u32 v15, v20, v23, v15
	v_mul_lo_u32 v20, v4, s15
	v_mul_lo_u32 v21, v5, s14
	v_mad_u64_u32 v[4:5], s[2:3], v4, s14, v[16:17]
	v_add3_u32 v5, v21, v5, v20
	v_mul_lo_u32 v8, s17, v16
	v_mul_lo_u32 v9, s16, v17
	;; [unrolled: 1-line block ×4, first 2 shown]
	v_mad_u64_u32 v[4:5], s[2:3], v4, s16, 0
	v_add3_u32 v5, v5, v17, v16
	v_mul_lo_u32 v19, v19, s16
	v_mul_lo_u32 v20, v18, s17
	v_mad_u64_u32 v[16:17], s[2:3], v18, s16, 0
	v_add3_u32 v7, v7, v9, v8
	v_add3_u32 v17, v17, v20, v19
	v_mul_lo_u32 v20, s17, v22
	v_mul_lo_u32 v15, s16, v15
	v_mad_u64_u32 v[18:19], s[2:3], s16, v22, 0
	v_lshl_add_u64 v[6:7], v[6:7], 3, s[8:9]
	v_lshlrev_b64 v[10:11], 3, v[10:11]
	s_ashr_i32 s1, s0, 31
	v_add3_u32 v19, v19, v15, v20
	v_lshl_add_u64 v[8:9], s[16:17], 3, v[6:7]
	v_lshl_add_u64 v[12:13], v[6:7], 0, v[10:11]
	;; [unrolled: 1-line block ×5, first 2 shown]
	s_lshl_b64 s[2:3], s[0:1], 3
	s_mov_b64 s[4:5], 0
	v_mov_b32_e32 v20, 0x3ff00000
.LBB24_3:                               ; =>This Inner Loop Header: Depth=1
	v_lshl_add_u64 v[24:25], v[6:7], 0, v[10:11]
	v_lshl_add_u64 v[22:23], v[16:17], 0, v[10:11]
	global_load_dwordx2 v[26:27], v[24:25], off
	global_load_dwordx2 v[28:29], v[22:23], off
	v_lshl_add_u64 v[12:13], s[0:1], 3, v[12:13]
	v_cmp_ge_u64_e32 vcc, v[12:13], v[8:9]
	s_or_b64 s[4:5], vcc, s[4:5]
	v_lshl_add_u64 v[24:25], v[4:5], 0, v[10:11]
	v_lshl_add_u64 v[22:23], v[18:19], 0, v[10:11]
	;; [unrolled: 1-line block ×3, first 2 shown]
	s_waitcnt vmcnt(0)
	v_add_f64 v[26:27], v[26:27], -v[28:29]
	v_cmp_lt_f64_e32 vcc, 0, v[26:27]
	s_nop 1
	v_cndmask_b32_e64 v21, 0, 1, vcc
	v_cmp_eq_f64_e64 vcc, |v[26:27]|, v[2:3]
	s_nop 1
	v_cndmask_b32_e32 v15, 0, v20, vcc
	v_cmp_gt_f64_e32 vcc, 0, v[26:27]
	s_nop 1
	v_subbrev_co_u32_e32 v21, vcc, 0, v21, vcc
	v_cvt_f64_i32_e32 v[26:27], v21
	v_mul_f64 v[26:27], v[0:1], v[26:27]
	v_mul_f64 v[26:27], v[26:27], v[14:15]
	global_store_dwordx2 v[24:25], v[26:27], off
	v_xor_b32_e32 v27, 0x80000000, v27
	global_store_dwordx2 v[22:23], v[26:27], off
	s_andn2_b64 exec, exec, s[4:5]
	s_cbranch_execnz .LBB24_3
.LBB24_4:
	s_endpgm
	.section	.rodata,"a",@progbits
	.p2align	6, 0x0
	.amdhsa_kernel _ZN2at6native12_GLOBAL__N_131pdist_backward_kernel_cuda_implIdNS1_5distsIdE3infEEEvPT_PKS6_S9_S9_llllS6_dd
		.amdhsa_group_segment_fixed_size 0
		.amdhsa_private_segment_fixed_size 0
		.amdhsa_kernarg_size 344
		.amdhsa_user_sgpr_count 2
		.amdhsa_user_sgpr_dispatch_ptr 0
		.amdhsa_user_sgpr_queue_ptr 0
		.amdhsa_user_sgpr_kernarg_segment_ptr 1
		.amdhsa_user_sgpr_dispatch_id 0
		.amdhsa_user_sgpr_kernarg_preload_length 0
		.amdhsa_user_sgpr_kernarg_preload_offset 0
		.amdhsa_user_sgpr_private_segment_size 0
		.amdhsa_uses_dynamic_stack 0
		.amdhsa_enable_private_segment 0
		.amdhsa_system_sgpr_workgroup_id_x 1
		.amdhsa_system_sgpr_workgroup_id_y 1
		.amdhsa_system_sgpr_workgroup_id_z 0
		.amdhsa_system_sgpr_workgroup_info 0
		.amdhsa_system_vgpr_workitem_id 1
		.amdhsa_next_free_vgpr 30
		.amdhsa_next_free_sgpr 26
		.amdhsa_accum_offset 32
		.amdhsa_reserve_vcc 1
		.amdhsa_float_round_mode_32 0
		.amdhsa_float_round_mode_16_64 0
		.amdhsa_float_denorm_mode_32 3
		.amdhsa_float_denorm_mode_16_64 3
		.amdhsa_dx10_clamp 1
		.amdhsa_ieee_mode 1
		.amdhsa_fp16_overflow 0
		.amdhsa_tg_split 0
		.amdhsa_exception_fp_ieee_invalid_op 0
		.amdhsa_exception_fp_denorm_src 0
		.amdhsa_exception_fp_ieee_div_zero 0
		.amdhsa_exception_fp_ieee_overflow 0
		.amdhsa_exception_fp_ieee_underflow 0
		.amdhsa_exception_fp_ieee_inexact 0
		.amdhsa_exception_int_div_zero 0
	.end_amdhsa_kernel
	.section	.text._ZN2at6native12_GLOBAL__N_131pdist_backward_kernel_cuda_implIdNS1_5distsIdE3infEEEvPT_PKS6_S9_S9_llllS6_dd,"axG",@progbits,_ZN2at6native12_GLOBAL__N_131pdist_backward_kernel_cuda_implIdNS1_5distsIdE3infEEEvPT_PKS6_S9_S9_llllS6_dd,comdat
.Lfunc_end24:
	.size	_ZN2at6native12_GLOBAL__N_131pdist_backward_kernel_cuda_implIdNS1_5distsIdE3infEEEvPT_PKS6_S9_S9_llllS6_dd, .Lfunc_end24-_ZN2at6native12_GLOBAL__N_131pdist_backward_kernel_cuda_implIdNS1_5distsIdE3infEEEvPT_PKS6_S9_S9_llllS6_dd
                                        ; -- End function
	.set _ZN2at6native12_GLOBAL__N_131pdist_backward_kernel_cuda_implIdNS1_5distsIdE3infEEEvPT_PKS6_S9_S9_llllS6_dd.num_vgpr, 30
	.set _ZN2at6native12_GLOBAL__N_131pdist_backward_kernel_cuda_implIdNS1_5distsIdE3infEEEvPT_PKS6_S9_S9_llllS6_dd.num_agpr, 0
	.set _ZN2at6native12_GLOBAL__N_131pdist_backward_kernel_cuda_implIdNS1_5distsIdE3infEEEvPT_PKS6_S9_S9_llllS6_dd.numbered_sgpr, 26
	.set _ZN2at6native12_GLOBAL__N_131pdist_backward_kernel_cuda_implIdNS1_5distsIdE3infEEEvPT_PKS6_S9_S9_llllS6_dd.num_named_barrier, 0
	.set _ZN2at6native12_GLOBAL__N_131pdist_backward_kernel_cuda_implIdNS1_5distsIdE3infEEEvPT_PKS6_S9_S9_llllS6_dd.private_seg_size, 0
	.set _ZN2at6native12_GLOBAL__N_131pdist_backward_kernel_cuda_implIdNS1_5distsIdE3infEEEvPT_PKS6_S9_S9_llllS6_dd.uses_vcc, 1
	.set _ZN2at6native12_GLOBAL__N_131pdist_backward_kernel_cuda_implIdNS1_5distsIdE3infEEEvPT_PKS6_S9_S9_llllS6_dd.uses_flat_scratch, 0
	.set _ZN2at6native12_GLOBAL__N_131pdist_backward_kernel_cuda_implIdNS1_5distsIdE3infEEEvPT_PKS6_S9_S9_llllS6_dd.has_dyn_sized_stack, 0
	.set _ZN2at6native12_GLOBAL__N_131pdist_backward_kernel_cuda_implIdNS1_5distsIdE3infEEEvPT_PKS6_S9_S9_llllS6_dd.has_recursion, 0
	.set _ZN2at6native12_GLOBAL__N_131pdist_backward_kernel_cuda_implIdNS1_5distsIdE3infEEEvPT_PKS6_S9_S9_llllS6_dd.has_indirect_call, 0
	.section	.AMDGPU.csdata,"",@progbits
; Kernel info:
; codeLenInByte = 1048
; TotalNumSgprs: 32
; NumVgprs: 30
; NumAgprs: 0
; TotalNumVgprs: 30
; ScratchSize: 0
; MemoryBound: 0
; FloatMode: 240
; IeeeMode: 1
; LDSByteSize: 0 bytes/workgroup (compile time only)
; SGPRBlocks: 3
; VGPRBlocks: 3
; NumSGPRsForWavesPerEU: 32
; NumVGPRsForWavesPerEU: 30
; AccumOffset: 32
; Occupancy: 8
; WaveLimiterHint : 0
; COMPUTE_PGM_RSRC2:SCRATCH_EN: 0
; COMPUTE_PGM_RSRC2:USER_SGPR: 2
; COMPUTE_PGM_RSRC2:TRAP_HANDLER: 0
; COMPUTE_PGM_RSRC2:TGID_X_EN: 1
; COMPUTE_PGM_RSRC2:TGID_Y_EN: 1
; COMPUTE_PGM_RSRC2:TGID_Z_EN: 0
; COMPUTE_PGM_RSRC2:TIDIG_COMP_CNT: 1
; COMPUTE_PGM_RSRC3_GFX90A:ACCUM_OFFSET: 7
; COMPUTE_PGM_RSRC3_GFX90A:TG_SPLIT: 0
	.section	.text._ZN2at6native12_GLOBAL__N_131pdist_backward_kernel_cuda_implIfNS1_5distsIfE1pEEEvPT_PKS6_S9_S9_llllS6_dd,"axG",@progbits,_ZN2at6native12_GLOBAL__N_131pdist_backward_kernel_cuda_implIfNS1_5distsIfE1pEEEvPT_PKS6_S9_S9_llllS6_dd,comdat
	.globl	_ZN2at6native12_GLOBAL__N_131pdist_backward_kernel_cuda_implIfNS1_5distsIfE1pEEEvPT_PKS6_S9_S9_llllS6_dd ; -- Begin function _ZN2at6native12_GLOBAL__N_131pdist_backward_kernel_cuda_implIfNS1_5distsIfE1pEEEvPT_PKS6_S9_S9_llllS6_dd
	.p2align	8
	.type	_ZN2at6native12_GLOBAL__N_131pdist_backward_kernel_cuda_implIfNS1_5distsIfE1pEEEvPT_PKS6_S9_S9_llllS6_dd,@function
_ZN2at6native12_GLOBAL__N_131pdist_backward_kernel_cuda_implIfNS1_5distsIfE1pEEEvPT_PKS6_S9_S9_llllS6_dd: ; @_ZN2at6native12_GLOBAL__N_131pdist_backward_kernel_cuda_implIfNS1_5distsIfE1pEEEvPT_PKS6_S9_S9_llllS6_dd
; %bb.0:
	s_load_dwordx16 s[4:19], s[0:1], 0x0
	s_load_dword s20, s[0:1], 0x64
	s_add_u32 s24, s0, 0x58
	s_addc_u32 s25, s1, 0
	v_and_b32_e32 v2, 0x3ff, v0
	v_mov_b32_e32 v3, 0
	s_waitcnt lgkmcnt(0)
	s_and_b32 s21, s20, 0xffff
	v_mov_b32_e32 v1, s2
	v_mad_u64_u32 v[8:9], s[22:23], s21, v1, v[2:3]
	v_cmp_gt_i64_e32 vcc, s[18:19], v[8:9]
	s_and_saveexec_b64 s[18:19], vcc
	s_cbranch_execz .LBB25_6
; %bb.1:
	s_lshr_b32 s18, s20, 16
	s_mul_i32 s3, s3, s18
	v_bfe_u32 v0, v0, 10, 10
	v_add_u32_e32 v4, s3, v0
	v_ashrrev_i32_e32 v5, 31, v4
	v_cmp_gt_i64_e32 vcc, s[16:17], v[4:5]
	s_and_b64 exec, exec, vcc
	s_cbranch_execz .LBB25_6
; %bb.2:
	s_load_dword s2, s[0:1], 0x40
	s_load_dwordx4 s[20:23], s[0:1], 0x48
	v_lshlrev_b64 v[0:1], 1, v[8:9]
	v_cvt_f64_u32_e32 v[2:3], v1
	v_ldexp_f64 v[2:3], v[2:3], 32
	v_cvt_f64_u32_e32 v[0:1], v0
	v_add_f64 v[0:1], v[2:3], v[0:1]
	s_mov_b32 s0, 0
	s_waitcnt lgkmcnt(0)
	v_add_f64 v[0:1], s[22:23], -v[0:1]
	s_brev_b32 s1, 8
	v_mov_b32_e32 v2, 0x100
	v_cmp_gt_f64_e32 vcc, s[0:1], v[0:1]
	s_movk_i32 s0, 0xffe0
	v_mov_b32_e32 v17, 0
	v_cndmask_b32_e32 v2, 0, v2, vcc
	v_ldexp_f64 v[2:3], v[0:1], v2
	v_rsq_f64_e32 v[6:7], v[2:3]
	v_mov_b32_e32 v0, s6
	v_mov_b32_e32 v1, s7
	s_load_dword s3, s[24:25], 0x4
	v_mul_f64 v[10:11], v[2:3], v[6:7]
	v_mul_f64 v[6:7], v[6:7], 0.5
	v_fma_f64 v[12:13], -v[6:7], v[10:11], 0.5
	v_fmac_f64_e32 v[10:11], v[10:11], v[12:13]
	v_fma_f64 v[14:15], -v[10:11], v[10:11], v[2:3]
	v_fmac_f64_e32 v[6:7], v[6:7], v[12:13]
	v_fmac_f64_e32 v[10:11], v[14:15], v[6:7]
	v_fma_f64 v[12:13], -v[10:11], v[10:11], v[2:3]
	v_fmac_f64_e32 v[10:11], v[12:13], v[6:7]
	v_mov_b32_e32 v6, 0xffffff80
	v_cndmask_b32_e32 v6, 0, v6, vcc
	v_ldexp_f64 v[6:7], v[10:11], v6
	v_mov_b32_e32 v10, s10
	v_mov_b32_e32 v11, s11
	v_lshl_add_u64 v[10:11], v[8:9], 2, v[10:11]
	global_load_dword v20, v[10:11], off
	v_mov_b32_e32 v10, 0x260
	v_cmp_class_f64_e32 vcc, v[2:3], v10
	s_waitcnt lgkmcnt(0)
	s_mul_i32 s10, s3, s18
	s_mov_b32 s18, 0x3f2aaaab
	v_cndmask_b32_e32 v3, v7, v3, vcc
	v_cndmask_b32_e32 v2, v6, v2, vcc
	v_add_f64 v[2:3], s[20:21], -v[2:3]
	v_trunc_f64_e32 v[2:3], v[2:3]
	v_ldexp_f64 v[6:7], v[2:3], s0
	v_floor_f64_e32 v[6:7], v[6:7]
	v_fmac_f64_e32 v[2:3], 0xc1f00000, v[6:7]
	v_cvt_u32_f64_e32 v10, v[2:3]
	v_cvt_i32_f64_e32 v11, v[6:7]
	v_lshl_add_u64 v[12:13], v[10:11], 0, 1
	v_mul_lo_u32 v15, v13, v10
	v_mul_hi_u32 v16, v12, v10
	v_mul_lo_u32 v18, v12, v11
	v_add3_u32 v16, v16, v18, v15
	v_lshrrev_b32_e32 v16, 31, v16
	v_mad_u64_u32 v[16:17], s[0:1], v12, v10, v[16:17]
	v_add3_u32 v17, v15, v17, v18
	v_mul_lo_u32 v15, s15, v10
	v_mad_u64_u32 v[18:19], s[0:1], s14, v10, 0
	v_mul_lo_u32 v21, s14, v11
	v_mul_lo_u32 v7, v8, s13
	v_mad_u64_u32 v[2:3], s[0:1], v8, s12, 0
	v_add3_u32 v15, v19, v21, v15
	v_sub_co_u32_e32 v8, vcc, v8, v18
	v_mul_lo_u32 v6, v9, s12
	v_ashrrev_i64 v[16:17], 1, v[16:17]
	v_subb_co_u32_e32 v9, vcc, v9, v15, vcc
	v_lshl_add_u64 v[8:9], v[16:17], 0, v[8:9]
	v_lshl_add_u64 v[16:17], v[12:13], 0, v[8:9]
	v_mov_b32_e32 v13, s15
	v_sub_co_u32_e32 v12, vcc, s14, v10
	v_add3_u32 v3, v3, v7, v6
	s_nop 0
	v_subb_co_u32_e32 v13, vcc, v13, v11, vcc
	v_lshl_add_u64 v[18:19], v[12:13], 0, -2
	v_mad_u64_u32 v[12:13], s[0:1], v18, s14, v[16:17]
	v_mul_lo_u32 v15, v18, s15
	v_mul_lo_u32 v18, v19, s14
	v_add3_u32 v13, v18, v13, v15
	v_mul_lo_u32 v15, v8, s15
	v_mul_lo_u32 v18, v9, s14
	v_mad_u64_u32 v[8:9], s[0:1], v8, s14, v[10:11]
	v_lshl_add_u64 v[0:1], v[2:3], 2, v[0:1]
	v_add3_u32 v9, v18, v9, v15
	global_load_dword v14, v[0:1], off
	v_mul_lo_u32 v2, s17, v10
	v_mad_u64_u32 v[0:1], s[0:1], s16, v10, 0
	v_mul_lo_u32 v3, s16, v11
	v_mul_lo_u32 v10, v9, s16
	v_mul_lo_u32 v11, v8, s17
	v_mad_u64_u32 v[8:9], s[0:1], v8, s16, 0
	v_add3_u32 v9, v9, v11, v10
	v_mul_lo_u32 v15, v17, s16
	v_mul_lo_u32 v17, v16, s17
	v_mad_u64_u32 v[10:11], s[0:1], v16, s16, 0
	v_add_f32_e64 v16, s2, -1.0
	v_add3_u32 v11, v11, v17, v15
	s_mov_b32 s19, 0x3f317218
	s_movk_i32 s20, 0x204
	s_mov_b32 s22, 0x42b17218
	s_mov_b32 s23, 0x3fb8aa3b
	;; [unrolled: 1-line block ×4, first 2 shown]
	v_add_f32_e64 v15, s2, -2.0
	s_waitcnt vmcnt(1)
	v_cmp_neq_f32_e32 vcc, 1.0, v20
	v_cmp_neq_f32_e64 s[0:1], 0, v20
	v_add3_u32 v1, v1, v3, v2
	v_cndmask_b32_e32 v32, 1.0, v16, vcc
	v_cmp_neq_f32_e32 vcc, 0, v32
	s_brev_b32 s11, -2
	v_lshl_add_u64 v[0:1], v[0:1], 2, s[8:9]
	v_cndmask_b32_e32 v33, 1.0, v20, vcc
	v_frexp_mant_f32_e64 v16, |v33|
	v_cmp_gt_f32_e32 vcc, s18, v16
	v_lshl_add_u64 v[10:11], v[10:11], 2, s[8:9]
	v_cmp_neq_f32_e64 s[6:7], v32, |v32|
	v_cndmask_b32_e64 v17, 1.0, 2.0, vcc
	v_mul_f32_e32 v16, v16, v17
	v_add_f32_e32 v19, 1.0, v16
	v_rcp_f32_e32 v24, v19
	v_add_f32_e32 v17, -1.0, v19
	v_sub_f32_e32 v21, v16, v17
	v_add_f32_e32 v17, -1.0, v16
	v_mul_f32_e32 v25, v17, v24
	v_mul_f32_e32 v18, v19, v25
	v_fma_f32 v20, v25, v19, -v18
	v_fmac_f32_e32 v20, v25, v21
	v_add_f32_e32 v16, v18, v20
	v_sub_f32_e32 v19, v17, v16
	v_pk_add_f32 v[22:23], v[16:17], v[18:19] neg_lo:[0,1] neg_hi:[0,1]
	v_mov_b32_e32 v21, v16
	v_pk_add_f32 v[16:17], v[22:23], v[20:21] neg_lo:[0,1] neg_hi:[0,1]
                                        ; implicit-def: $vgpr23
	v_cmp_lt_f32_e64 s[8:9], |v33|, 1.0
	v_add_f32_e32 v16, v16, v17
	v_add_f32_e32 v16, v19, v16
	v_mul_f32_e32 v16, v24, v16
	v_add_f32_e32 v18, v25, v16
	v_sub_f32_e32 v17, v18, v25
	v_sub_f32_e32 v17, v16, v17
	v_mul_f32_e32 v19, v18, v18
	v_fma_f32 v21, v18, v18, -v19
	v_add_f32_e32 v16, v17, v17
	v_fmac_f32_e32 v21, v18, v16
	v_add_f32_e32 v20, v19, v21
	v_mov_b32_e32 v16, 0x3e91f4c4
	v_fmamk_f32 v22, v20, 0x3e76c4e1, v16
	v_fmaak_f32 v22, v20, v22, 0x3ecccdef
	v_sub_f32_e32 v19, v20, v19
	v_sub_f32_e32 v28, v21, v19
	v_mul_f32_e32 v19, v20, v22
	v_fma_f32 v21, v20, v22, -v19
	v_fmac_f32_e32 v21, v28, v22
	v_add_f32_e32 v22, v19, v21
	v_add_f32_e32 v23, 0x3f2aaaaa, v22
	v_sub_f32_e32 v19, v22, v19
	v_sub_f32_e32 v19, v21, v19
	v_add_f32_e32 v21, 0xbf2aaaaa, v23
	v_add_f32_e32 v19, 0x31739010, v19
	v_sub_f32_e32 v21, v22, v21
	v_pk_mul_f32 v[24:25], v[18:19], v[20:21]
	v_pk_add_f32 v[26:27], v[18:19], v[20:21]
	v_fma_f32 v22, v20, v18, -v24
	v_fmac_f32_e32 v22, v20, v17
	v_mov_b32_e32 v25, v27
	v_fmac_f32_e32 v22, v28, v18
	v_pk_add_f32 v[20:21], v[24:25], v[22:23]
	v_ldexp_f32 v17, v17, 1
	v_sub_f32_e32 v19, v20, v24
	v_sub_f32_e32 v19, v22, v19
	;; [unrolled: 1-line block ×3, first 2 shown]
	v_add_f32_e32 v25, v27, v22
	v_pk_mul_f32 v[22:23], v[20:21], v[20:21] op_sel:[0,1] op_sel_hi:[1,0]
	v_cvt_f64_f32_e64 v[26:27], |v33|
	v_frexp_exp_i32_f64_e32 v23, v[26:27]
	v_subbrev_co_u32_e32 v23, vcc, 0, v23, vcc
	v_cvt_f32_i32_e32 v23, v23
	v_fma_f32 v24, v20, v21, -v22
	v_fmac_f32_e32 v24, v20, v25
	v_fmac_f32_e32 v24, v19, v21
	v_mul_f32_e32 v20, 0x3f317218, v23
	v_fma_f32 v26, v23, s19, -v20
	v_fmac_f32_e32 v26, 0xb102e308, v23
	v_ldexp_f32 v27, v18, 1
	v_add_f32_e32 v21, v22, v24
	v_pk_add_f32 v[18:19], v[20:21], v[26:27]
	v_mov_b32_e32 v28, v21
	v_mov_b32_e32 v29, v19
	;; [unrolled: 1-line block ×3, first 2 shown]
	v_pk_add_f32 v[22:23], v[28:29], v[22:23] neg_lo:[0,1] neg_hi:[0,1]
	v_mov_b32_e32 v25, v21
	v_pk_add_f32 v[22:23], v[24:25], v[22:23] neg_lo:[0,1] neg_hi:[0,1]
	v_mov_b32_e32 v27, v18
	v_add_f32_e32 v17, v17, v22
	v_add_f32_e32 v21, v17, v23
	v_pk_add_f32 v[22:23], v[18:19], v[20:21] neg_lo:[0,1] neg_hi:[0,1]
	v_pk_add_f32 v[24:25], v[18:19], v[20:21]
	v_mov_b32_e32 v20, v21
	v_mov_b32_e32 v23, v25
	v_pk_add_f32 v[28:29], v[26:27], v[22:23] neg_lo:[0,1] neg_hi:[0,1]
	v_pk_add_f32 v[22:23], v[26:27], v[22:23]
	v_mov_b32_e32 v21, v18
	v_pk_add_f32 v[26:27], v[22:23], v[18:19] op_sel:[1,0] op_sel_hi:[0,1] neg_lo:[0,1] neg_hi:[0,1]
	v_pk_add_f32 v[30:31], v[24:25], v[26:27] op_sel_hi:[1,0] neg_lo:[0,1] neg_hi:[0,1]
	v_mov_b32_e32 v24, v25
	v_mov_b32_e32 v25, v23
	v_pk_mov_b32 v[26:27], v[18:19], v[26:27] op_sel:[1,0]
	v_mov_b32_e32 v30, v28
	v_pk_add_f32 v[24:25], v[24:25], v[26:27] neg_lo:[0,1] neg_hi:[0,1]
	v_mov_b32_e32 v29, v23
	v_pk_add_f32 v[18:19], v[20:21], v[24:25] neg_lo:[0,1] neg_hi:[0,1]
	s_xor_b64 s[6:7], s[6:7], s[8:9]
	v_pk_add_f32 v[20:21], v[30:31], v[18:19]
	v_lshlrev_b64 v[4:5], 2, v[4:5]
	v_pk_add_f32 v[24:25], v[20:21], v[20:21] op_sel:[0,1] op_sel_hi:[1,0]
	v_lshl_add_u64 v[2:3], s[16:17], 2, v[0:1]
	v_pk_add_f32 v[22:23], v[22:23], v[24:25] op_sel:[1,0] op_sel_hi:[0,1]
	v_mov_b32_e32 v21, v22
	v_pk_add_f32 v[26:27], v[20:21], v[28:29] neg_lo:[0,1] neg_hi:[0,1]
	v_mov_b32_e32 v19, v24
	v_sub_f32_e32 v17, v20, v26
	v_pk_add_f32 v[18:19], v[18:19], v[26:27] neg_lo:[0,1] neg_hi:[0,1]
	v_sub_f32_e32 v17, v28, v17
	v_add_f32_e32 v17, v18, v17
	v_add_f32_e32 v17, v17, v19
	v_add_f32_e32 v18, v22, v17
	v_sub_f32_e32 v19, v18, v22
	v_sub_f32_e32 v17, v17, v19
	v_mul_f32_e32 v19, v32, v18
	v_fma_f32 v18, v32, v18, -v19
	v_fmac_f32_e32 v18, v32, v17
	v_add_f32_e32 v17, v19, v18
	v_cmp_class_f32_e64 vcc, v19, s20
	v_sub_f32_e32 v20, v17, v19
	v_sub_f32_e32 v18, v18, v20
	v_cndmask_b32_e32 v19, v17, v19, vcc
	v_mov_b32_e32 v17, 0x37000000
	v_cmp_eq_f32_e32 vcc, s22, v19
	v_lshl_add_u64 v[6:7], v[0:1], 0, v[4:5]
	v_lshl_add_u64 v[8:9], v[8:9], 2, s[4:5]
	v_cndmask_b32_e32 v20, 0, v17, vcc
	v_sub_f32_e32 v21, v19, v20
	v_mul_f32_e32 v22, 0x3fb8aa3b, v21
	v_fma_f32 v23, v21, s23, -v22
	v_rndne_f32_e32 v24, v22
	v_fmac_f32_e32 v23, 0x32a5705f, v21
	v_sub_f32_e32 v22, v22, v24
	v_add_f32_e32 v22, v22, v23
	v_exp_f32_e32 v22, v22
	v_cvt_i32_f32_e32 v23, v24
	v_cmp_neq_f32_e64 vcc, |v19|, s21
	s_mov_b64 s[14:15], 0
	s_nop 0
	v_cndmask_b32_e32 v18, 0, v18, vcc
	v_add_f32_e32 v19, v20, v18
	v_ldexp_f32 v18, v22, v23
	v_cmp_ngt_f32_e32 vcc, s24, v21
	s_nop 1
	v_cndmask_b32_e32 v20, 0, v18, vcc
	v_mov_b32_e32 v18, 0x7f800000
	v_cmp_nlt_f32_e32 vcc, s22, v21
	v_trunc_f32_e32 v21, v32
	s_nop 0
	v_cndmask_b32_e32 v20, v18, v20, vcc
	v_fma_f32 v19, v20, v19, v20
	v_cmp_class_f32_e64 vcc, v20, s20
	s_nop 1
	v_cndmask_b32_e32 v20, v19, v20, vcc
	v_cmp_eq_f32_e32 vcc, v21, v32
	v_mul_f32_e32 v21, 0.5, v32
	v_trunc_f32_e32 v22, v21
	v_cmp_neq_f32_e64 s[2:3], v22, v21
	s_and_b64 s[2:3], vcc, s[2:3]
	v_mov_b32_e32 v19, 0x7fc00000
	v_cndmask_b32_e64 v21, 1.0, v33, s[2:3]
	v_bfi_b32 v20, s11, v20, v21
	v_cndmask_b32_e32 v21, v19, v20, vcc
	v_cmp_gt_f32_e32 vcc, 0, v33
	v_cndmask_b32_e64 v22, 0, v33, s[2:3]
	s_nop 0
	v_cndmask_b32_e32 v20, v20, v21, vcc
	v_cndmask_b32_e64 v21, v18, 0, s[6:7]
	v_cmp_neq_f32_e64 vcc, |v33|, 1.0
	s_nop 1
	v_cndmask_b32_e32 v21, 1.0, v21, vcc
	v_cmp_class_f32_e64 vcc, v32, s20
	s_nop 1
	v_cndmask_b32_e32 v20, v20, v21, vcc
	v_cmp_gt_f32_e32 vcc, 0, v32
	s_nop 1
	v_cndmask_b32_e64 v21, v18, 0, vcc
	v_bfi_b32 v21, s11, v21, v22
	v_cmp_class_f32_e64 vcc, v33, s20
	v_mul_lo_u32 v22, s16, v13
	s_ashr_i32 s11, s10, 31
	v_cndmask_b32_e32 v20, v20, v21, vcc
	v_mul_lo_u32 v21, s17, v12
	v_mad_u64_u32 v[12:13], s[2:3], s16, v12, 0
	v_cmp_o_f32_e32 vcc, v33, v32
	v_add3_u32 v13, v13, v22, v21
	v_lshl_add_u64 v[12:13], v[12:13], 2, s[4:5]
	v_cndmask_b32_e32 v20, v19, v20, vcc
	s_lshl_b64 s[12:13], s[10:11], 2
	s_branch .LBB25_4
.LBB25_3:                               ;   in Loop: Header=BB25_4 Depth=1
	s_or_b64 exec, exec, s[16:17]
	v_lshl_add_u64 v[6:7], s[10:11], 2, v[6:7]
	v_lshl_add_u64 v[24:25], v[8:9], 0, v[4:5]
	v_cmp_ge_u64_e32 vcc, v[6:7], v[2:3]
	v_lshl_add_u64 v[22:23], v[12:13], 0, v[4:5]
	global_store_dword v[24:25], v21, off
	v_xor_b32_e32 v21, 0x80000000, v21
	s_or_b64 s[14:15], vcc, s[14:15]
	v_lshl_add_u64 v[4:5], v[4:5], 0, s[12:13]
	global_store_dword v[22:23], v21, off
	s_andn2_b64 exec, exec, s[14:15]
	s_cbranch_execz .LBB25_6
.LBB25_4:                               ; =>This Inner Loop Header: Depth=1
	v_mov_b32_e32 v21, 0
	s_and_saveexec_b64 s[16:17], s[0:1]
	s_cbranch_execz .LBB25_3
; %bb.5:                                ;   in Loop: Header=BB25_4 Depth=1
	v_lshl_add_u64 v[24:25], v[0:1], 0, v[4:5]
	v_lshl_add_u64 v[22:23], v[10:11], 0, v[4:5]
	global_load_dword v21, v[24:25], off
	global_load_dword v26, v[22:23], off
	s_waitcnt vmcnt(0)
	v_sub_f32_e32 v21, v21, v26
	v_cmp_neq_f32_e64 vcc, |v21|, 1.0
	s_nop 1
	v_cndmask_b32_e32 v22, 1.0, v15, vcc
	v_cmp_neq_f32_e32 vcc, 0, v22
	v_cmp_gt_f32_e64 s[4:5], 0, v22
	v_cmp_neq_f32_e64 s[26:27], v22, |v22|
	v_cndmask_b32_e64 v23, 1.0, |v21|, vcc
	v_frexp_mant_f32_e32 v26, v23
	v_cmp_gt_f32_e64 s[8:9], s18, v26
	v_cvt_f64_f32_e32 v[24:25], v23
	v_cmp_eq_f32_e64 s[2:3], 0, v23
	v_cndmask_b32_e64 v27, 1.0, 2.0, s[8:9]
	v_mul_f32_e32 v26, v26, v27
	v_add_f32_e32 v27, 1.0, v26
	v_cmp_gt_f32_e64 s[6:7], 1.0, v23
	v_frexp_exp_i32_f64_e32 v24, v[24:25]
	s_xor_b64 s[4:5], s[4:5], s[2:3]
	v_rcp_f32_e32 v29, v27
	s_xor_b64 s[6:7], s[26:27], s[6:7]
	v_cndmask_b32_e64 v38, v18, 0, s[4:5]
	v_subbrev_co_u32_e64 v24, s[4:5], 0, v24, s[8:9]
	v_cndmask_b32_e64 v25, v18, 0, s[6:7]
	v_cmp_neq_f32_e64 s[4:5], 1.0, v23
	v_cvt_f32_i32_e32 v24, v24
	v_add_f32_e32 v28, -1.0, v27
	v_cndmask_b32_e64 v39, 1.0, v25, s[4:5]
	v_add_f32_e32 v25, -1.0, v26
	v_mul_f32_e32 v34, v25, v29
	v_mul_f32_e32 v30, v27, v34
	v_sub_f32_e32 v31, v26, v28
	v_mul_f32_e32 v26, 0x3f317218, v24
	v_fma_f32 v32, v34, v27, -v30
	v_fma_f32 v28, v24, s19, -v26
	v_fmac_f32_e32 v32, v34, v31
	v_fmac_f32_e32 v28, 0xb102e308, v24
	v_add_f32_e32 v24, v30, v32
	v_sub_f32_e32 v31, v25, v24
	v_mov_b32_e32 v33, v24
	v_pk_add_f32 v[24:25], v[24:25], v[30:31] neg_lo:[0,1] neg_hi:[0,1]
	v_cmp_eq_f32_e32 vcc, s21, v23
	v_pk_add_f32 v[24:25], v[24:25], v[32:33] neg_lo:[0,1] neg_hi:[0,1]
	s_or_b64 vcc, s[2:3], vcc
	v_add_f32_e32 v24, v24, v25
	v_add_f32_e32 v24, v31, v24
	v_mul_f32_e32 v25, v29, v24
	v_add_f32_e32 v24, v34, v25
	v_sub_f32_e32 v27, v24, v34
	v_mul_f32_e32 v31, v24, v24
	v_sub_f32_e32 v27, v25, v27
	v_fma_f32 v25, v24, v24, -v31
	v_add_f32_e32 v30, v27, v27
	v_fmac_f32_e32 v25, v24, v30
	v_add_f32_e32 v30, v31, v25
	v_fmamk_f32 v32, v30, 0x3e76c4e1, v16
	v_sub_f32_e32 v31, v30, v31
	v_fmaak_f32 v32, v30, v32, 0x3ecccdef
	v_sub_f32_e32 v41, v25, v31
	v_mul_f32_e32 v25, v30, v32
	v_fma_f32 v31, v30, v32, -v25
	v_fmac_f32_e32 v31, v41, v32
	v_add_f32_e32 v32, v25, v31
	v_add_f32_e32 v33, 0x3f2aaaaa, v32
	v_sub_f32_e32 v25, v32, v25
	v_sub_f32_e32 v25, v31, v25
	v_add_f32_e32 v31, 0xbf2aaaaa, v33
	v_add_f32_e32 v25, 0x31739010, v25
	v_sub_f32_e32 v31, v32, v31
	v_pk_mul_f32 v[34:35], v[24:25], v[30:31]
	v_pk_add_f32 v[36:37], v[24:25], v[30:31]
	v_fma_f32 v32, v30, v24, -v34
	v_fmac_f32_e32 v32, v30, v27
	v_mov_b32_e32 v35, v37
	v_fmac_f32_e32 v32, v41, v24
	v_ldexp_f32 v29, v24, 1
	v_pk_add_f32 v[24:25], v[34:35], v[32:33]
	v_ldexp_f32 v40, v27, 1
	v_sub_f32_e32 v27, v24, v34
	v_sub_f32_e32 v33, v33, v25
	v_pk_mul_f32 v[30:31], v[24:25], v[24:25] op_sel:[0,1] op_sel_hi:[1,0]
	v_sub_f32_e32 v27, v32, v27
	v_add_f32_e32 v33, v37, v33
	v_fma_f32 v32, v24, v25, -v30
	v_fmac_f32_e32 v32, v24, v33
	v_fmac_f32_e32 v32, v27, v25
	v_add_f32_e32 v27, v30, v32
	v_pk_add_f32 v[24:25], v[26:27], v[28:29]
	v_mov_b32_e32 v31, v29
	v_mov_b32_e32 v34, v27
	;; [unrolled: 1-line block ×4, first 2 shown]
	v_pk_add_f32 v[30:31], v[34:35], v[30:31] neg_lo:[0,1] neg_hi:[0,1]
	v_mov_b32_e32 v29, v24
	v_pk_add_f32 v[30:31], v[32:33], v[30:31] neg_lo:[0,1] neg_hi:[0,1]
	v_mov_b32_e32 v37, v24
	v_add_f32_e32 v27, v40, v30
	v_add_f32_e32 v27, v27, v31
	v_pk_add_f32 v[30:31], v[24:25], v[26:27] neg_lo:[0,1] neg_hi:[0,1]
	v_pk_add_f32 v[32:33], v[24:25], v[26:27]
	v_mov_b32_e32 v36, v27
	v_mov_b32_e32 v31, v33
	v_pk_add_f32 v[34:35], v[28:29], v[30:31] neg_lo:[0,1] neg_hi:[0,1]
	v_pk_add_f32 v[28:29], v[28:29], v[30:31]
	v_mov_b32_e32 v26, v33
	v_pk_add_f32 v[30:31], v[28:29], v[24:25] op_sel:[1,0] op_sel_hi:[0,1] neg_lo:[0,1] neg_hi:[0,1]
	v_mov_b32_e32 v27, v29
	v_pk_mov_b32 v[24:25], v[24:25], v[30:31] op_sel:[1,0]
	v_pk_add_f32 v[32:33], v[32:33], v[30:31] op_sel_hi:[1,0] neg_lo:[0,1] neg_hi:[0,1]
	v_pk_add_f32 v[24:25], v[26:27], v[24:25] neg_lo:[0,1] neg_hi:[0,1]
	v_mov_b32_e32 v32, v34
	v_pk_add_f32 v[24:25], v[36:37], v[24:25] neg_lo:[0,1] neg_hi:[0,1]
	v_mov_b32_e32 v35, v29
	v_pk_add_f32 v[26:27], v[32:33], v[24:25]
	s_nop 0
	v_pk_add_f32 v[30:31], v[26:27], v[26:27] op_sel:[0,1] op_sel_hi:[1,0]
	s_nop 0
	v_pk_add_f32 v[28:29], v[28:29], v[30:31] op_sel:[1,0] op_sel_hi:[0,1]
	v_mov_b32_e32 v27, v28
	v_mov_b32_e32 v25, v30
	v_pk_add_f32 v[30:31], v[26:27], v[34:35] neg_lo:[0,1] neg_hi:[0,1]
	s_nop 0
	v_sub_f32_e32 v26, v26, v30
	v_pk_add_f32 v[24:25], v[24:25], v[30:31] neg_lo:[0,1] neg_hi:[0,1]
	v_sub_f32_e32 v26, v34, v26
	v_add_f32_e32 v24, v24, v26
	v_add_f32_e32 v24, v24, v25
	;; [unrolled: 1-line block ×3, first 2 shown]
	v_sub_f32_e32 v26, v25, v28
	v_mul_f32_e32 v27, v22, v25
	v_sub_f32_e32 v24, v24, v26
	v_fma_f32 v25, v22, v25, -v27
	v_fmac_f32_e32 v25, v22, v24
	v_add_f32_e32 v24, v27, v25
	v_cmp_class_f32_e64 s[4:5], v27, s20
	v_sub_f32_e32 v26, v24, v27
	v_sub_f32_e32 v25, v25, v26
	v_cndmask_b32_e64 v24, v24, v27, s[4:5]
	v_cmp_eq_f32_e64 s[4:5], s22, v24
	s_nop 1
	v_cndmask_b32_e64 v26, 0, v17, s[4:5]
	v_sub_f32_e32 v27, v24, v26
	v_mul_f32_e32 v28, 0x3fb8aa3b, v27
	v_fma_f32 v29, v27, s23, -v28
	v_rndne_f32_e32 v30, v28
	v_fmac_f32_e32 v29, 0x32a5705f, v27
	v_sub_f32_e32 v28, v28, v30
	v_add_f32_e32 v28, v28, v29
	v_cvt_i32_f32_e32 v30, v30
	v_exp_f32_e32 v28, v28
	v_cmp_neq_f32_e64 s[4:5], |v24|, s21
	s_nop 1
	v_cndmask_b32_e64 v24, 0, v25, s[4:5]
	v_ldexp_f32 v25, v28, v30
	v_cmp_ngt_f32_e64 s[4:5], s24, v27
	v_add_f32_e32 v24, v26, v24
	s_nop 0
	v_cndmask_b32_e64 v25, 0, v25, s[4:5]
	v_cmp_nlt_f32_e64 s[4:5], s22, v27
	s_nop 1
	v_cndmask_b32_e64 v25, v18, v25, s[4:5]
	v_fma_f32 v24, v25, v24, v25
	v_cmp_class_f32_e64 s[4:5], v25, s20
	s_nop 1
	v_cndmask_b32_e64 v24, v24, v25, s[4:5]
	v_cmp_class_f32_e64 s[4:5], v22, s20
	s_nop 1
	v_cndmask_b32_e64 v24, |v24|, v39, s[4:5]
	v_cndmask_b32_e32 v24, v24, v38, vcc
	v_cmp_o_f32_e32 vcc, v23, v22
	s_nop 1
	v_cndmask_b32_e32 v22, v19, v24, vcc
	v_mul_f32_e32 v21, v21, v22
	v_mul_f32_e32 v21, v14, v21
	v_div_scale_f32 v22, s[2:3], v20, v20, v21
	v_rcp_f32_e32 v23, v22
	v_div_scale_f32 v24, vcc, v21, v20, v21
	v_fma_f32 v25, -v22, v23, 1.0
	v_fmac_f32_e32 v23, v25, v23
	v_mul_f32_e32 v25, v24, v23
	v_fma_f32 v26, -v22, v25, v24
	v_fmac_f32_e32 v25, v26, v23
	v_fma_f32 v22, -v22, v25, v24
	v_div_fmas_f32 v22, v22, v23, v25
	v_div_fixup_f32 v21, v22, v20, v21
	s_branch .LBB25_3
.LBB25_6:
	s_endpgm
	.section	.rodata,"a",@progbits
	.p2align	6, 0x0
	.amdhsa_kernel _ZN2at6native12_GLOBAL__N_131pdist_backward_kernel_cuda_implIfNS1_5distsIfE1pEEEvPT_PKS6_S9_S9_llllS6_dd
		.amdhsa_group_segment_fixed_size 0
		.amdhsa_private_segment_fixed_size 0
		.amdhsa_kernarg_size 344
		.amdhsa_user_sgpr_count 2
		.amdhsa_user_sgpr_dispatch_ptr 0
		.amdhsa_user_sgpr_queue_ptr 0
		.amdhsa_user_sgpr_kernarg_segment_ptr 1
		.amdhsa_user_sgpr_dispatch_id 0
		.amdhsa_user_sgpr_kernarg_preload_length 0
		.amdhsa_user_sgpr_kernarg_preload_offset 0
		.amdhsa_user_sgpr_private_segment_size 0
		.amdhsa_uses_dynamic_stack 0
		.amdhsa_enable_private_segment 0
		.amdhsa_system_sgpr_workgroup_id_x 1
		.amdhsa_system_sgpr_workgroup_id_y 1
		.amdhsa_system_sgpr_workgroup_id_z 0
		.amdhsa_system_sgpr_workgroup_info 0
		.amdhsa_system_vgpr_workitem_id 1
		.amdhsa_next_free_vgpr 42
		.amdhsa_next_free_sgpr 28
		.amdhsa_accum_offset 44
		.amdhsa_reserve_vcc 1
		.amdhsa_float_round_mode_32 0
		.amdhsa_float_round_mode_16_64 0
		.amdhsa_float_denorm_mode_32 3
		.amdhsa_float_denorm_mode_16_64 3
		.amdhsa_dx10_clamp 1
		.amdhsa_ieee_mode 1
		.amdhsa_fp16_overflow 0
		.amdhsa_tg_split 0
		.amdhsa_exception_fp_ieee_invalid_op 0
		.amdhsa_exception_fp_denorm_src 0
		.amdhsa_exception_fp_ieee_div_zero 0
		.amdhsa_exception_fp_ieee_overflow 0
		.amdhsa_exception_fp_ieee_underflow 0
		.amdhsa_exception_fp_ieee_inexact 0
		.amdhsa_exception_int_div_zero 0
	.end_amdhsa_kernel
	.section	.text._ZN2at6native12_GLOBAL__N_131pdist_backward_kernel_cuda_implIfNS1_5distsIfE1pEEEvPT_PKS6_S9_S9_llllS6_dd,"axG",@progbits,_ZN2at6native12_GLOBAL__N_131pdist_backward_kernel_cuda_implIfNS1_5distsIfE1pEEEvPT_PKS6_S9_S9_llllS6_dd,comdat
.Lfunc_end25:
	.size	_ZN2at6native12_GLOBAL__N_131pdist_backward_kernel_cuda_implIfNS1_5distsIfE1pEEEvPT_PKS6_S9_S9_llllS6_dd, .Lfunc_end25-_ZN2at6native12_GLOBAL__N_131pdist_backward_kernel_cuda_implIfNS1_5distsIfE1pEEEvPT_PKS6_S9_S9_llllS6_dd
                                        ; -- End function
	.set _ZN2at6native12_GLOBAL__N_131pdist_backward_kernel_cuda_implIfNS1_5distsIfE1pEEEvPT_PKS6_S9_S9_llllS6_dd.num_vgpr, 42
	.set _ZN2at6native12_GLOBAL__N_131pdist_backward_kernel_cuda_implIfNS1_5distsIfE1pEEEvPT_PKS6_S9_S9_llllS6_dd.num_agpr, 0
	.set _ZN2at6native12_GLOBAL__N_131pdist_backward_kernel_cuda_implIfNS1_5distsIfE1pEEEvPT_PKS6_S9_S9_llllS6_dd.numbered_sgpr, 28
	.set _ZN2at6native12_GLOBAL__N_131pdist_backward_kernel_cuda_implIfNS1_5distsIfE1pEEEvPT_PKS6_S9_S9_llllS6_dd.num_named_barrier, 0
	.set _ZN2at6native12_GLOBAL__N_131pdist_backward_kernel_cuda_implIfNS1_5distsIfE1pEEEvPT_PKS6_S9_S9_llllS6_dd.private_seg_size, 0
	.set _ZN2at6native12_GLOBAL__N_131pdist_backward_kernel_cuda_implIfNS1_5distsIfE1pEEEvPT_PKS6_S9_S9_llllS6_dd.uses_vcc, 1
	.set _ZN2at6native12_GLOBAL__N_131pdist_backward_kernel_cuda_implIfNS1_5distsIfE1pEEEvPT_PKS6_S9_S9_llllS6_dd.uses_flat_scratch, 0
	.set _ZN2at6native12_GLOBAL__N_131pdist_backward_kernel_cuda_implIfNS1_5distsIfE1pEEEvPT_PKS6_S9_S9_llllS6_dd.has_dyn_sized_stack, 0
	.set _ZN2at6native12_GLOBAL__N_131pdist_backward_kernel_cuda_implIfNS1_5distsIfE1pEEEvPT_PKS6_S9_S9_llllS6_dd.has_recursion, 0
	.set _ZN2at6native12_GLOBAL__N_131pdist_backward_kernel_cuda_implIfNS1_5distsIfE1pEEEvPT_PKS6_S9_S9_llllS6_dd.has_indirect_call, 0
	.section	.AMDGPU.csdata,"",@progbits
; Kernel info:
; codeLenInByte = 3112
; TotalNumSgprs: 34
; NumVgprs: 42
; NumAgprs: 0
; TotalNumVgprs: 42
; ScratchSize: 0
; MemoryBound: 0
; FloatMode: 240
; IeeeMode: 1
; LDSByteSize: 0 bytes/workgroup (compile time only)
; SGPRBlocks: 4
; VGPRBlocks: 5
; NumSGPRsForWavesPerEU: 34
; NumVGPRsForWavesPerEU: 42
; AccumOffset: 44
; Occupancy: 8
; WaveLimiterHint : 0
; COMPUTE_PGM_RSRC2:SCRATCH_EN: 0
; COMPUTE_PGM_RSRC2:USER_SGPR: 2
; COMPUTE_PGM_RSRC2:TRAP_HANDLER: 0
; COMPUTE_PGM_RSRC2:TGID_X_EN: 1
; COMPUTE_PGM_RSRC2:TGID_Y_EN: 1
; COMPUTE_PGM_RSRC2:TGID_Z_EN: 0
; COMPUTE_PGM_RSRC2:TIDIG_COMP_CNT: 1
; COMPUTE_PGM_RSRC3_GFX90A:ACCUM_OFFSET: 10
; COMPUTE_PGM_RSRC3_GFX90A:TG_SPLIT: 0
	.section	.text._ZN2at6native12_GLOBAL__N_131pdist_backward_kernel_cuda_implIfNS1_5distsIfE3oneEEEvPT_PKS6_S9_S9_llllS6_dd,"axG",@progbits,_ZN2at6native12_GLOBAL__N_131pdist_backward_kernel_cuda_implIfNS1_5distsIfE3oneEEEvPT_PKS6_S9_S9_llllS6_dd,comdat
	.globl	_ZN2at6native12_GLOBAL__N_131pdist_backward_kernel_cuda_implIfNS1_5distsIfE3oneEEEvPT_PKS6_S9_S9_llllS6_dd ; -- Begin function _ZN2at6native12_GLOBAL__N_131pdist_backward_kernel_cuda_implIfNS1_5distsIfE3oneEEEvPT_PKS6_S9_S9_llllS6_dd
	.p2align	8
	.type	_ZN2at6native12_GLOBAL__N_131pdist_backward_kernel_cuda_implIfNS1_5distsIfE3oneEEEvPT_PKS6_S9_S9_llllS6_dd,@function
_ZN2at6native12_GLOBAL__N_131pdist_backward_kernel_cuda_implIfNS1_5distsIfE3oneEEEvPT_PKS6_S9_S9_llllS6_dd: ; @_ZN2at6native12_GLOBAL__N_131pdist_backward_kernel_cuda_implIfNS1_5distsIfE3oneEEEvPT_PKS6_S9_S9_llllS6_dd
; %bb.0:
	s_load_dwordx8 s[4:11], s[0:1], 0x20
	s_load_dword s12, s[0:1], 0x64
	s_add_u32 s20, s0, 0x58
	s_addc_u32 s21, s1, 0
	v_and_b32_e32 v2, 0x3ff, v0
	v_mov_b32_e32 v3, 0
	s_waitcnt lgkmcnt(0)
	s_and_b32 s13, s12, 0xffff
	v_mov_b32_e32 v1, s2
	v_mad_u64_u32 v[2:3], s[14:15], s13, v1, v[2:3]
	v_cmp_gt_i64_e32 vcc, s[10:11], v[2:3]
	s_and_saveexec_b64 s[10:11], vcc
	s_cbranch_execz .LBB26_4
; %bb.1:
	s_lshr_b32 s10, s12, 16
	s_mul_i32 s3, s3, s10
	v_bfe_u32 v0, v0, 10, 10
	v_add_u32_e32 v6, s3, v0
	v_ashrrev_i32_e32 v7, 31, v6
	v_cmp_gt_i64_e32 vcc, s[8:9], v[6:7]
	s_and_b64 exec, exec, vcc
	s_cbranch_execz .LBB26_4
; %bb.2:
	s_load_dwordx4 s[12:15], s[0:1], 0x0
	s_load_dwordx2 s[2:3], s[0:1], 0x10
	s_load_dwordx4 s[16:19], s[0:1], 0x48
	v_lshlrev_b64 v[0:1], 1, v[2:3]
	v_cvt_f64_u32_e32 v[4:5], v1
	v_ldexp_f64 v[4:5], v[4:5], 32
	v_cvt_f64_u32_e32 v[0:1], v0
	v_add_f64 v[0:1], v[4:5], v[0:1]
	s_mov_b32 s0, 0
	s_waitcnt lgkmcnt(0)
	v_add_f64 v[0:1], s[18:19], -v[0:1]
	s_brev_b32 s1, 8
	v_mov_b32_e32 v4, 0x100
	v_cmp_gt_f64_e32 vcc, s[0:1], v[0:1]
	v_mov_b32_e32 v8, s14
	v_mov_b32_e32 v9, s15
	v_cndmask_b32_e32 v4, 0, v4, vcc
	v_ldexp_f64 v[0:1], v[0:1], v4
	v_rsq_f64_e32 v[4:5], v[0:1]
	v_mov_b32_e32 v17, 0
	s_load_dword s11, s[20:21], 0x4
	v_lshlrev_b64 v[6:7], 2, v[6:7]
	v_mul_f64 v[10:11], v[0:1], v[4:5]
	v_mul_f64 v[4:5], v[4:5], 0.5
	v_fma_f64 v[12:13], -v[4:5], v[10:11], 0.5
	v_fmac_f64_e32 v[10:11], v[10:11], v[12:13]
	v_fma_f64 v[14:15], -v[10:11], v[10:11], v[0:1]
	v_fmac_f64_e32 v[4:5], v[4:5], v[12:13]
	v_fmac_f64_e32 v[10:11], v[14:15], v[4:5]
	v_fma_f64 v[12:13], -v[10:11], v[10:11], v[0:1]
	v_fmac_f64_e32 v[10:11], v[12:13], v[4:5]
	v_mov_b32_e32 v4, 0xffffff80
	v_cndmask_b32_e32 v4, 0, v4, vcc
	v_ldexp_f64 v[4:5], v[10:11], v4
	v_mul_lo_u32 v13, v3, s4
	v_mul_lo_u32 v14, v2, s5
	v_mad_u64_u32 v[10:11], s[0:1], v2, s4, 0
	v_add3_u32 v11, v11, v14, v13
	v_lshl_add_u64 v[8:9], v[10:11], 2, v[8:9]
	global_load_dword v14, v[8:9], off
	v_mov_b32_e32 v12, 0x260
	v_cmp_class_f64_e32 vcc, v[0:1], v12
	s_movk_i32 s0, 0xffe0
	s_nop 0
	v_cndmask_b32_e32 v1, v5, v1, vcc
	v_cndmask_b32_e32 v0, v4, v0, vcc
	v_add_f64 v[0:1], s[16:17], -v[0:1]
	v_trunc_f64_e32 v[0:1], v[0:1]
	v_ldexp_f64 v[4:5], v[0:1], s0
	v_floor_f64_e32 v[4:5], v[4:5]
	v_fmac_f64_e32 v[0:1], 0xc1f00000, v[4:5]
	v_cvt_u32_f64_e32 v10, v[0:1]
	v_cvt_i32_f64_e32 v11, v[4:5]
	v_lshl_add_u64 v[12:13], v[10:11], 0, 1
	v_mul_lo_u32 v15, v13, v10
	v_mul_hi_u32 v16, v12, v10
	v_mul_lo_u32 v18, v12, v11
	v_add3_u32 v16, v16, v18, v15
	v_lshrrev_b32_e32 v16, 31, v16
	v_mad_u64_u32 v[16:17], s[4:5], v12, v10, v[16:17]
	v_add3_u32 v17, v15, v17, v18
	v_mul_lo_u32 v15, s7, v10
	v_mad_u64_u32 v[18:19], s[4:5], s6, v10, 0
	v_mul_lo_u32 v20, s6, v11
	v_add3_u32 v15, v19, v20, v15
	v_sub_co_u32_e32 v2, vcc, v2, v18
	v_ashrrev_i64 v[16:17], 1, v[16:17]
	s_nop 0
	v_subb_co_u32_e32 v3, vcc, v3, v15, vcc
	v_lshl_add_u64 v[2:3], v[16:17], 0, v[2:3]
	v_mov_b32_e32 v15, s7
	v_sub_co_u32_e32 v16, vcc, s6, v10
	v_lshl_add_u64 v[12:13], v[12:13], 0, v[2:3]
	s_nop 0
	v_subb_co_u32_e32 v17, vcc, v15, v11, vcc
	v_lshl_add_u64 v[16:17], v[16:17], 0, -2
	v_mad_u64_u32 v[18:19], s[4:5], v16, s6, v[12:13]
	v_mul_lo_u32 v15, v16, s7
	v_mul_lo_u32 v16, v17, s6
	v_add3_u32 v15, v16, v19, v15
	v_mul_lo_u32 v16, v2, s7
	v_mul_lo_u32 v17, v3, s6
	v_mad_u64_u32 v[2:3], s[4:5], v2, s6, v[10:11]
	v_add3_u32 v3, v17, v3, v16
	v_mul_lo_u32 v4, s9, v10
	v_mad_u64_u32 v[0:1], s[0:1], s8, v10, 0
	v_mul_lo_u32 v5, s8, v11
	v_mul_lo_u32 v10, v3, s8
	;; [unrolled: 1-line block ×3, first 2 shown]
	v_mad_u64_u32 v[2:3], s[4:5], v2, s8, 0
	v_add3_u32 v3, v3, v11, v10
	v_mul_lo_u32 v13, v13, s8
	v_mul_lo_u32 v16, v12, s9
	v_mad_u64_u32 v[10:11], s[4:5], v12, s8, 0
	v_add3_u32 v1, v1, v5, v4
	v_add3_u32 v11, v11, v16, v13
	v_lshl_add_u64 v[0:1], v[0:1], 2, s[2:3]
	s_waitcnt lgkmcnt(0)
	s_mul_i32 s0, s11, s10
	v_lshl_add_u64 v[10:11], v[10:11], 2, s[2:3]
	v_mul_lo_u32 v16, s9, v18
	v_mul_lo_u32 v15, s8, v15
	v_mad_u64_u32 v[12:13], s[2:3], s8, v18, 0
	s_ashr_i32 s1, s0, 31
	v_add3_u32 v13, v13, v15, v16
	v_lshl_add_u64 v[4:5], s[8:9], 2, v[0:1]
	v_lshl_add_u64 v[8:9], v[0:1], 0, v[6:7]
	;; [unrolled: 1-line block ×4, first 2 shown]
	s_lshl_b64 s[2:3], s[0:1], 2
	s_mov_b64 s[4:5], 0
.LBB26_3:                               ; =>This Inner Loop Header: Depth=1
	v_lshl_add_u64 v[18:19], v[0:1], 0, v[6:7]
	v_lshl_add_u64 v[16:17], v[10:11], 0, v[6:7]
	global_load_dword v15, v[18:19], off
	global_load_dword v20, v[16:17], off
	v_lshl_add_u64 v[8:9], s[0:1], 2, v[8:9]
	v_lshl_add_u64 v[18:19], v[2:3], 0, v[6:7]
	;; [unrolled: 1-line block ×4, first 2 shown]
	s_waitcnt vmcnt(0)
	v_sub_f32_e32 v15, v15, v20
	v_cmp_lt_f32_e32 vcc, 0, v15
	s_nop 1
	v_cndmask_b32_e64 v20, 0, 1, vcc
	v_cmp_gt_f32_e32 vcc, 0, v15
	s_nop 1
	v_subbrev_co_u32_e32 v15, vcc, 0, v20, vcc
	v_cvt_f32_i32_e32 v15, v15
	v_cmp_ge_u64_e32 vcc, v[8:9], v[4:5]
	s_or_b64 s[4:5], vcc, s[4:5]
	v_mul_f32_e32 v15, v14, v15
	global_store_dword v[18:19], v15, off
	v_xor_b32_e32 v15, 0x80000000, v15
	global_store_dword v[16:17], v15, off
	s_andn2_b64 exec, exec, s[4:5]
	s_cbranch_execnz .LBB26_3
.LBB26_4:
	s_endpgm
	.section	.rodata,"a",@progbits
	.p2align	6, 0x0
	.amdhsa_kernel _ZN2at6native12_GLOBAL__N_131pdist_backward_kernel_cuda_implIfNS1_5distsIfE3oneEEEvPT_PKS6_S9_S9_llllS6_dd
		.amdhsa_group_segment_fixed_size 0
		.amdhsa_private_segment_fixed_size 0
		.amdhsa_kernarg_size 344
		.amdhsa_user_sgpr_count 2
		.amdhsa_user_sgpr_dispatch_ptr 0
		.amdhsa_user_sgpr_queue_ptr 0
		.amdhsa_user_sgpr_kernarg_segment_ptr 1
		.amdhsa_user_sgpr_dispatch_id 0
		.amdhsa_user_sgpr_kernarg_preload_length 0
		.amdhsa_user_sgpr_kernarg_preload_offset 0
		.amdhsa_user_sgpr_private_segment_size 0
		.amdhsa_uses_dynamic_stack 0
		.amdhsa_enable_private_segment 0
		.amdhsa_system_sgpr_workgroup_id_x 1
		.amdhsa_system_sgpr_workgroup_id_y 1
		.amdhsa_system_sgpr_workgroup_id_z 0
		.amdhsa_system_sgpr_workgroup_info 0
		.amdhsa_system_vgpr_workitem_id 1
		.amdhsa_next_free_vgpr 21
		.amdhsa_next_free_sgpr 22
		.amdhsa_accum_offset 24
		.amdhsa_reserve_vcc 1
		.amdhsa_float_round_mode_32 0
		.amdhsa_float_round_mode_16_64 0
		.amdhsa_float_denorm_mode_32 3
		.amdhsa_float_denorm_mode_16_64 3
		.amdhsa_dx10_clamp 1
		.amdhsa_ieee_mode 1
		.amdhsa_fp16_overflow 0
		.amdhsa_tg_split 0
		.amdhsa_exception_fp_ieee_invalid_op 0
		.amdhsa_exception_fp_denorm_src 0
		.amdhsa_exception_fp_ieee_div_zero 0
		.amdhsa_exception_fp_ieee_overflow 0
		.amdhsa_exception_fp_ieee_underflow 0
		.amdhsa_exception_fp_ieee_inexact 0
		.amdhsa_exception_int_div_zero 0
	.end_amdhsa_kernel
	.section	.text._ZN2at6native12_GLOBAL__N_131pdist_backward_kernel_cuda_implIfNS1_5distsIfE3oneEEEvPT_PKS6_S9_S9_llllS6_dd,"axG",@progbits,_ZN2at6native12_GLOBAL__N_131pdist_backward_kernel_cuda_implIfNS1_5distsIfE3oneEEEvPT_PKS6_S9_S9_llllS6_dd,comdat
.Lfunc_end26:
	.size	_ZN2at6native12_GLOBAL__N_131pdist_backward_kernel_cuda_implIfNS1_5distsIfE3oneEEEvPT_PKS6_S9_S9_llllS6_dd, .Lfunc_end26-_ZN2at6native12_GLOBAL__N_131pdist_backward_kernel_cuda_implIfNS1_5distsIfE3oneEEEvPT_PKS6_S9_S9_llllS6_dd
                                        ; -- End function
	.set _ZN2at6native12_GLOBAL__N_131pdist_backward_kernel_cuda_implIfNS1_5distsIfE3oneEEEvPT_PKS6_S9_S9_llllS6_dd.num_vgpr, 21
	.set _ZN2at6native12_GLOBAL__N_131pdist_backward_kernel_cuda_implIfNS1_5distsIfE3oneEEEvPT_PKS6_S9_S9_llllS6_dd.num_agpr, 0
	.set _ZN2at6native12_GLOBAL__N_131pdist_backward_kernel_cuda_implIfNS1_5distsIfE3oneEEEvPT_PKS6_S9_S9_llllS6_dd.numbered_sgpr, 22
	.set _ZN2at6native12_GLOBAL__N_131pdist_backward_kernel_cuda_implIfNS1_5distsIfE3oneEEEvPT_PKS6_S9_S9_llllS6_dd.num_named_barrier, 0
	.set _ZN2at6native12_GLOBAL__N_131pdist_backward_kernel_cuda_implIfNS1_5distsIfE3oneEEEvPT_PKS6_S9_S9_llllS6_dd.private_seg_size, 0
	.set _ZN2at6native12_GLOBAL__N_131pdist_backward_kernel_cuda_implIfNS1_5distsIfE3oneEEEvPT_PKS6_S9_S9_llllS6_dd.uses_vcc, 1
	.set _ZN2at6native12_GLOBAL__N_131pdist_backward_kernel_cuda_implIfNS1_5distsIfE3oneEEEvPT_PKS6_S9_S9_llllS6_dd.uses_flat_scratch, 0
	.set _ZN2at6native12_GLOBAL__N_131pdist_backward_kernel_cuda_implIfNS1_5distsIfE3oneEEEvPT_PKS6_S9_S9_llllS6_dd.has_dyn_sized_stack, 0
	.set _ZN2at6native12_GLOBAL__N_131pdist_backward_kernel_cuda_implIfNS1_5distsIfE3oneEEEvPT_PKS6_S9_S9_llllS6_dd.has_recursion, 0
	.set _ZN2at6native12_GLOBAL__N_131pdist_backward_kernel_cuda_implIfNS1_5distsIfE3oneEEEvPT_PKS6_S9_S9_llllS6_dd.has_indirect_call, 0
	.section	.AMDGPU.csdata,"",@progbits
; Kernel info:
; codeLenInByte = 1000
; TotalNumSgprs: 28
; NumVgprs: 21
; NumAgprs: 0
; TotalNumVgprs: 21
; ScratchSize: 0
; MemoryBound: 0
; FloatMode: 240
; IeeeMode: 1
; LDSByteSize: 0 bytes/workgroup (compile time only)
; SGPRBlocks: 3
; VGPRBlocks: 2
; NumSGPRsForWavesPerEU: 28
; NumVGPRsForWavesPerEU: 21
; AccumOffset: 24
; Occupancy: 8
; WaveLimiterHint : 1
; COMPUTE_PGM_RSRC2:SCRATCH_EN: 0
; COMPUTE_PGM_RSRC2:USER_SGPR: 2
; COMPUTE_PGM_RSRC2:TRAP_HANDLER: 0
; COMPUTE_PGM_RSRC2:TGID_X_EN: 1
; COMPUTE_PGM_RSRC2:TGID_Y_EN: 1
; COMPUTE_PGM_RSRC2:TGID_Z_EN: 0
; COMPUTE_PGM_RSRC2:TIDIG_COMP_CNT: 1
; COMPUTE_PGM_RSRC3_GFX90A:ACCUM_OFFSET: 5
; COMPUTE_PGM_RSRC3_GFX90A:TG_SPLIT: 0
	.section	.text._ZN2at6native12_GLOBAL__N_131pdist_backward_kernel_cuda_implIfNS1_5distsIfE6lt_twoEEEvPT_PKS6_S9_S9_llllS6_dd,"axG",@progbits,_ZN2at6native12_GLOBAL__N_131pdist_backward_kernel_cuda_implIfNS1_5distsIfE6lt_twoEEEvPT_PKS6_S9_S9_llllS6_dd,comdat
	.globl	_ZN2at6native12_GLOBAL__N_131pdist_backward_kernel_cuda_implIfNS1_5distsIfE6lt_twoEEEvPT_PKS6_S9_S9_llllS6_dd ; -- Begin function _ZN2at6native12_GLOBAL__N_131pdist_backward_kernel_cuda_implIfNS1_5distsIfE6lt_twoEEEvPT_PKS6_S9_S9_llllS6_dd
	.p2align	8
	.type	_ZN2at6native12_GLOBAL__N_131pdist_backward_kernel_cuda_implIfNS1_5distsIfE6lt_twoEEEvPT_PKS6_S9_S9_llllS6_dd,@function
_ZN2at6native12_GLOBAL__N_131pdist_backward_kernel_cuda_implIfNS1_5distsIfE6lt_twoEEEvPT_PKS6_S9_S9_llllS6_dd: ; @_ZN2at6native12_GLOBAL__N_131pdist_backward_kernel_cuda_implIfNS1_5distsIfE6lt_twoEEEvPT_PKS6_S9_S9_llllS6_dd
; %bb.0:
	s_load_dwordx16 s[4:19], s[0:1], 0x0
	s_load_dword s20, s[0:1], 0x64
	s_add_u32 s24, s0, 0x58
	s_addc_u32 s25, s1, 0
	v_and_b32_e32 v2, 0x3ff, v0
	v_mov_b32_e32 v3, 0
	s_waitcnt lgkmcnt(0)
	s_and_b32 s21, s20, 0xffff
	v_mov_b32_e32 v1, s2
	v_mad_u64_u32 v[8:9], s[22:23], s21, v1, v[2:3]
	v_cmp_gt_i64_e32 vcc, s[18:19], v[8:9]
	s_and_saveexec_b64 s[18:19], vcc
	s_cbranch_execz .LBB27_6
; %bb.1:
	s_lshr_b32 s18, s20, 16
	s_mul_i32 s3, s3, s18
	v_bfe_u32 v0, v0, 10, 10
	v_add_u32_e32 v4, s3, v0
	v_ashrrev_i32_e32 v5, 31, v4
	v_cmp_gt_i64_e32 vcc, s[16:17], v[4:5]
	s_and_b64 exec, exec, vcc
	s_cbranch_execz .LBB27_6
; %bb.2:
	s_load_dword s2, s[0:1], 0x40
	s_load_dwordx4 s[20:23], s[0:1], 0x48
	v_lshlrev_b64 v[0:1], 1, v[8:9]
	v_cvt_f64_u32_e32 v[2:3], v1
	v_ldexp_f64 v[2:3], v[2:3], 32
	v_cvt_f64_u32_e32 v[0:1], v0
	v_add_f64 v[0:1], v[2:3], v[0:1]
	s_mov_b32 s0, 0
	s_waitcnt lgkmcnt(0)
	v_add_f64 v[0:1], s[22:23], -v[0:1]
	s_brev_b32 s1, 8
	v_mov_b32_e32 v2, 0x100
	v_cmp_gt_f64_e32 vcc, s[0:1], v[0:1]
	s_movk_i32 s0, 0xffe0
	v_mov_b32_e32 v17, 0
	v_cndmask_b32_e32 v2, 0, v2, vcc
	v_ldexp_f64 v[2:3], v[0:1], v2
	v_rsq_f64_e32 v[6:7], v[2:3]
	v_mov_b32_e32 v0, s6
	v_mov_b32_e32 v1, s7
	s_load_dword s3, s[24:25], 0x4
	v_mul_f64 v[10:11], v[2:3], v[6:7]
	v_mul_f64 v[6:7], v[6:7], 0.5
	v_fma_f64 v[12:13], -v[6:7], v[10:11], 0.5
	v_fmac_f64_e32 v[10:11], v[10:11], v[12:13]
	v_fma_f64 v[14:15], -v[10:11], v[10:11], v[2:3]
	v_fmac_f64_e32 v[6:7], v[6:7], v[12:13]
	v_fmac_f64_e32 v[10:11], v[14:15], v[6:7]
	v_fma_f64 v[12:13], -v[10:11], v[10:11], v[2:3]
	v_fmac_f64_e32 v[10:11], v[12:13], v[6:7]
	v_mov_b32_e32 v6, 0xffffff80
	v_cndmask_b32_e32 v6, 0, v6, vcc
	v_ldexp_f64 v[6:7], v[10:11], v6
	v_mov_b32_e32 v10, s10
	v_mov_b32_e32 v11, s11
	v_lshl_add_u64 v[10:11], v[8:9], 2, v[10:11]
	global_load_dword v20, v[10:11], off
	v_mov_b32_e32 v10, 0x260
	v_cmp_class_f64_e32 vcc, v[2:3], v10
	s_waitcnt lgkmcnt(0)
	s_mul_i32 s6, s3, s18
	s_mov_b32 s18, 0x3f2aaaab
	v_cndmask_b32_e32 v3, v7, v3, vcc
	v_cndmask_b32_e32 v2, v6, v2, vcc
	v_add_f64 v[2:3], s[20:21], -v[2:3]
	v_trunc_f64_e32 v[2:3], v[2:3]
	v_ldexp_f64 v[6:7], v[2:3], s0
	v_floor_f64_e32 v[6:7], v[6:7]
	v_fmac_f64_e32 v[2:3], 0xc1f00000, v[6:7]
	v_cvt_u32_f64_e32 v10, v[2:3]
	v_cvt_i32_f64_e32 v11, v[6:7]
	v_lshl_add_u64 v[12:13], v[10:11], 0, 1
	v_mul_lo_u32 v15, v13, v10
	v_mul_hi_u32 v16, v12, v10
	v_mul_lo_u32 v18, v12, v11
	v_add3_u32 v16, v16, v18, v15
	v_lshrrev_b32_e32 v16, 31, v16
	v_mad_u64_u32 v[16:17], s[0:1], v12, v10, v[16:17]
	v_add3_u32 v17, v15, v17, v18
	v_mul_lo_u32 v15, s15, v10
	v_mad_u64_u32 v[18:19], s[0:1], s14, v10, 0
	v_mul_lo_u32 v21, s14, v11
	v_mul_lo_u32 v7, v8, s13
	v_mad_u64_u32 v[2:3], s[0:1], v8, s12, 0
	v_add3_u32 v15, v19, v21, v15
	v_sub_co_u32_e32 v8, vcc, v8, v18
	v_mul_lo_u32 v6, v9, s12
	v_ashrrev_i64 v[16:17], 1, v[16:17]
	v_subb_co_u32_e32 v9, vcc, v9, v15, vcc
	v_lshl_add_u64 v[8:9], v[16:17], 0, v[8:9]
	v_lshl_add_u64 v[16:17], v[12:13], 0, v[8:9]
	v_mov_b32_e32 v13, s15
	v_sub_co_u32_e32 v12, vcc, s14, v10
	v_add3_u32 v3, v3, v7, v6
	s_nop 0
	v_subb_co_u32_e32 v13, vcc, v13, v11, vcc
	v_lshl_add_u64 v[18:19], v[12:13], 0, -2
	v_mad_u64_u32 v[12:13], s[0:1], v18, s14, v[16:17]
	v_mul_lo_u32 v15, v18, s15
	v_mul_lo_u32 v18, v19, s14
	v_add3_u32 v13, v18, v13, v15
	v_mul_lo_u32 v15, v8, s15
	v_mul_lo_u32 v18, v9, s14
	v_mad_u64_u32 v[8:9], s[0:1], v8, s14, v[10:11]
	v_lshl_add_u64 v[0:1], v[2:3], 2, v[0:1]
	v_add3_u32 v9, v18, v9, v15
	global_load_dword v14, v[0:1], off
	v_mul_lo_u32 v2, s17, v10
	v_mad_u64_u32 v[0:1], s[0:1], s16, v10, 0
	v_mul_lo_u32 v3, s16, v11
	v_mul_lo_u32 v10, v9, s16
	;; [unrolled: 1-line block ×3, first 2 shown]
	v_mad_u64_u32 v[8:9], s[0:1], v8, s16, 0
	v_add3_u32 v9, v9, v11, v10
	v_mul_lo_u32 v15, v17, s16
	v_mul_lo_u32 v17, v16, s17
	v_mad_u64_u32 v[10:11], s[0:1], v16, s16, 0
	v_add3_u32 v11, v11, v17, v15
	v_add_f32_e64 v15, s2, -1.0
	s_mov_b32 s19, 0x3f317218
	s_movk_i32 s20, 0x204
	s_mov_b32 s22, 0x42b17218
	s_mov_b32 s23, 0x3fb8aa3b
	;; [unrolled: 1-line block ×4, first 2 shown]
	v_add3_u32 v1, v1, v3, v2
	s_waitcnt vmcnt(1)
	v_cmp_neq_f32_e32 vcc, 1.0, v20
	v_cmp_eq_f32_e64 s[0:1], 0, v20
	v_lshl_add_u64 v[0:1], v[0:1], 2, s[8:9]
	v_cndmask_b32_e32 v32, 1.0, v15, vcc
	v_cmp_neq_f32_e32 vcc, 0, v32
	v_lshl_add_u64 v[10:11], v[10:11], 2, s[8:9]
	v_cmp_lt_f32_e64 s[8:9], s2, 1.0
	v_cndmask_b32_e32 v33, 1.0, v20, vcc
	v_frexp_mant_f32_e64 v16, |v33|
	v_cmp_gt_f32_e32 vcc, s18, v16
	s_brev_b32 s7, -2
	v_cmp_neq_f32_e64 s[10:11], v32, |v32|
	v_cndmask_b32_e64 v17, 1.0, 2.0, vcc
	v_mul_f32_e32 v16, v16, v17
	v_add_f32_e32 v19, 1.0, v16
	v_rcp_f32_e32 v24, v19
	v_add_f32_e32 v17, -1.0, v19
	v_sub_f32_e32 v21, v16, v17
	v_add_f32_e32 v17, -1.0, v16
	v_mul_f32_e32 v25, v17, v24
	v_mul_f32_e32 v18, v19, v25
	v_fma_f32 v20, v25, v19, -v18
	v_fmac_f32_e32 v20, v25, v21
	v_add_f32_e32 v16, v18, v20
	v_sub_f32_e32 v19, v17, v16
	v_pk_add_f32 v[22:23], v[16:17], v[18:19] neg_lo:[0,1] neg_hi:[0,1]
	v_mov_b32_e32 v21, v16
	v_pk_add_f32 v[16:17], v[22:23], v[20:21] neg_lo:[0,1] neg_hi:[0,1]
                                        ; implicit-def: $vgpr23
	v_cmp_lt_f32_e64 s[12:13], |v33|, 1.0
	v_add_f32_e32 v16, v16, v17
	v_add_f32_e32 v16, v19, v16
	v_mul_f32_e32 v16, v24, v16
	v_add_f32_e32 v18, v25, v16
	v_sub_f32_e32 v17, v18, v25
	v_sub_f32_e32 v17, v16, v17
	v_mul_f32_e32 v19, v18, v18
	v_fma_f32 v21, v18, v18, -v19
	v_add_f32_e32 v16, v17, v17
	v_fmac_f32_e32 v21, v18, v16
	v_add_f32_e32 v20, v19, v21
	v_mov_b32_e32 v16, 0x3e91f4c4
	v_fmamk_f32 v22, v20, 0x3e76c4e1, v16
	v_fmaak_f32 v22, v20, v22, 0x3ecccdef
	v_sub_f32_e32 v19, v20, v19
	v_sub_f32_e32 v28, v21, v19
	v_mul_f32_e32 v19, v20, v22
	v_fma_f32 v21, v20, v22, -v19
	v_fmac_f32_e32 v21, v28, v22
	v_add_f32_e32 v22, v19, v21
	v_add_f32_e32 v23, 0x3f2aaaaa, v22
	v_sub_f32_e32 v19, v22, v19
	v_sub_f32_e32 v19, v21, v19
	v_add_f32_e32 v21, 0xbf2aaaaa, v23
	v_add_f32_e32 v19, 0x31739010, v19
	v_sub_f32_e32 v21, v22, v21
	v_pk_mul_f32 v[24:25], v[18:19], v[20:21]
	v_pk_add_f32 v[26:27], v[18:19], v[20:21]
	v_fma_f32 v22, v20, v18, -v24
	v_fmac_f32_e32 v22, v20, v17
	v_mov_b32_e32 v25, v27
	v_fmac_f32_e32 v22, v28, v18
	v_pk_add_f32 v[20:21], v[24:25], v[22:23]
	v_ldexp_f32 v17, v17, 1
	v_sub_f32_e32 v19, v20, v24
	v_sub_f32_e32 v19, v22, v19
	;; [unrolled: 1-line block ×3, first 2 shown]
	v_add_f32_e32 v25, v27, v22
	v_pk_mul_f32 v[22:23], v[20:21], v[20:21] op_sel:[0,1] op_sel_hi:[1,0]
	v_cvt_f64_f32_e64 v[26:27], |v33|
	v_frexp_exp_i32_f64_e32 v23, v[26:27]
	v_subbrev_co_u32_e32 v23, vcc, 0, v23, vcc
	v_cvt_f32_i32_e32 v23, v23
	v_fma_f32 v24, v20, v21, -v22
	v_fmac_f32_e32 v24, v20, v25
	v_fmac_f32_e32 v24, v19, v21
	v_mul_f32_e32 v20, 0x3f317218, v23
	v_fma_f32 v26, v23, s19, -v20
	v_fmac_f32_e32 v26, 0xb102e308, v23
	v_ldexp_f32 v27, v18, 1
	v_add_f32_e32 v21, v22, v24
	v_pk_add_f32 v[18:19], v[20:21], v[26:27]
	v_mov_b32_e32 v28, v21
	v_mov_b32_e32 v29, v19
	v_mov_b32_e32 v23, v27
	v_pk_add_f32 v[22:23], v[28:29], v[22:23] neg_lo:[0,1] neg_hi:[0,1]
	v_mov_b32_e32 v25, v21
	v_pk_add_f32 v[22:23], v[24:25], v[22:23] neg_lo:[0,1] neg_hi:[0,1]
	v_mov_b32_e32 v27, v18
	v_add_f32_e32 v17, v17, v22
	v_add_f32_e32 v21, v17, v23
	v_pk_add_f32 v[22:23], v[18:19], v[20:21] neg_lo:[0,1] neg_hi:[0,1]
	v_pk_add_f32 v[24:25], v[18:19], v[20:21]
	v_mov_b32_e32 v20, v21
	v_mov_b32_e32 v23, v25
	v_pk_add_f32 v[28:29], v[26:27], v[22:23] neg_lo:[0,1] neg_hi:[0,1]
	v_pk_add_f32 v[22:23], v[26:27], v[22:23]
	v_mov_b32_e32 v21, v18
	v_pk_add_f32 v[26:27], v[22:23], v[18:19] op_sel:[1,0] op_sel_hi:[0,1] neg_lo:[0,1] neg_hi:[0,1]
	v_pk_add_f32 v[30:31], v[24:25], v[26:27] op_sel_hi:[1,0] neg_lo:[0,1] neg_hi:[0,1]
	v_mov_b32_e32 v24, v25
	v_mov_b32_e32 v25, v23
	v_pk_mov_b32 v[26:27], v[18:19], v[26:27] op_sel:[1,0]
	v_mov_b32_e32 v30, v28
	v_pk_add_f32 v[24:25], v[24:25], v[26:27] neg_lo:[0,1] neg_hi:[0,1]
	v_mov_b32_e32 v29, v23
	v_pk_add_f32 v[18:19], v[20:21], v[24:25] neg_lo:[0,1] neg_hi:[0,1]
	s_xor_b64 s[10:11], s[10:11], s[12:13]
	v_pk_add_f32 v[20:21], v[30:31], v[18:19]
	v_lshlrev_b64 v[4:5], 2, v[4:5]
	v_pk_add_f32 v[24:25], v[20:21], v[20:21] op_sel:[0,1] op_sel_hi:[1,0]
	v_lshl_add_u64 v[2:3], s[16:17], 2, v[0:1]
	v_pk_add_f32 v[22:23], v[22:23], v[24:25] op_sel:[1,0] op_sel_hi:[0,1]
	v_mov_b32_e32 v21, v22
	v_pk_add_f32 v[26:27], v[20:21], v[28:29] neg_lo:[0,1] neg_hi:[0,1]
	v_mov_b32_e32 v19, v24
	v_sub_f32_e32 v17, v20, v26
	v_pk_add_f32 v[18:19], v[18:19], v[26:27] neg_lo:[0,1] neg_hi:[0,1]
	v_sub_f32_e32 v17, v28, v17
	v_add_f32_e32 v17, v18, v17
	v_add_f32_e32 v17, v17, v19
	;; [unrolled: 1-line block ×3, first 2 shown]
	v_sub_f32_e32 v19, v18, v22
	v_sub_f32_e32 v17, v17, v19
	v_mul_f32_e32 v19, v32, v18
	v_fma_f32 v18, v32, v18, -v19
	v_fmac_f32_e32 v18, v32, v17
	v_add_f32_e32 v17, v19, v18
	v_cmp_class_f32_e64 vcc, v19, s20
	v_sub_f32_e32 v20, v17, v19
	v_sub_f32_e32 v18, v18, v20
	v_cndmask_b32_e32 v19, v17, v19, vcc
	v_mov_b32_e32 v17, 0x37000000
	v_cmp_eq_f32_e32 vcc, s22, v19
	v_lshl_add_u64 v[6:7], v[0:1], 0, v[4:5]
	v_lshl_add_u64 v[8:9], v[8:9], 2, s[4:5]
	v_cndmask_b32_e32 v20, 0, v17, vcc
	v_sub_f32_e32 v21, v19, v20
	v_mul_f32_e32 v22, 0x3fb8aa3b, v21
	v_fma_f32 v23, v21, s23, -v22
	v_rndne_f32_e32 v24, v22
	v_fmac_f32_e32 v23, 0x32a5705f, v21
	v_sub_f32_e32 v22, v22, v24
	v_add_f32_e32 v22, v22, v23
	v_exp_f32_e32 v22, v22
	v_cvt_i32_f32_e32 v23, v24
	v_cmp_neq_f32_e64 vcc, |v19|, s21
	s_mov_b64 s[12:13], 0
	s_nop 0
	v_cndmask_b32_e32 v18, 0, v18, vcc
	v_add_f32_e32 v19, v20, v18
	v_ldexp_f32 v18, v22, v23
	v_cmp_ngt_f32_e32 vcc, s24, v21
	s_nop 1
	v_cndmask_b32_e32 v20, 0, v18, vcc
	v_mov_b32_e32 v18, 0x7f800000
	v_cmp_nlt_f32_e32 vcc, s22, v21
	v_trunc_f32_e32 v21, v32
	s_nop 0
	v_cndmask_b32_e32 v20, v18, v20, vcc
	v_fma_f32 v19, v20, v19, v20
	v_cmp_class_f32_e64 vcc, v20, s20
	s_nop 1
	v_cndmask_b32_e32 v20, v19, v20, vcc
	v_cmp_eq_f32_e32 vcc, v21, v32
	v_mul_f32_e32 v21, 0.5, v32
	v_trunc_f32_e32 v22, v21
	v_cmp_neq_f32_e64 s[2:3], v22, v21
	s_and_b64 s[2:3], vcc, s[2:3]
	v_mov_b32_e32 v19, 0x7fc00000
	v_cndmask_b32_e64 v21, 1.0, v33, s[2:3]
	v_bfi_b32 v20, s7, v20, v21
	v_cndmask_b32_e32 v21, v19, v20, vcc
	v_cmp_gt_f32_e32 vcc, 0, v33
	v_cndmask_b32_e64 v22, 0, v33, s[2:3]
	s_nop 0
	v_cndmask_b32_e32 v20, v20, v21, vcc
	v_cndmask_b32_e64 v21, v18, 0, s[10:11]
	v_cmp_neq_f32_e64 vcc, |v33|, 1.0
	s_nop 1
	v_cndmask_b32_e32 v21, 1.0, v21, vcc
	v_cmp_class_f32_e64 vcc, v32, s20
	s_nop 1
	v_cndmask_b32_e32 v20, v20, v21, vcc
	v_cmp_gt_f32_e32 vcc, 0, v32
	s_nop 1
	v_cndmask_b32_e64 v21, v18, 0, vcc
	v_bfi_b32 v21, s7, v21, v22
	v_cmp_class_f32_e64 vcc, v33, s20
	v_mul_lo_u32 v22, s16, v13
	s_ashr_i32 s7, s6, 31
	v_cndmask_b32_e32 v20, v20, v21, vcc
	v_mul_lo_u32 v21, s17, v12
	v_mad_u64_u32 v[12:13], s[2:3], s16, v12, 0
	v_cmp_o_f32_e32 vcc, v33, v32
	v_add3_u32 v13, v13, v22, v21
	v_lshl_add_u64 v[12:13], v[12:13], 2, s[4:5]
	v_cndmask_b32_e32 v20, v19, v20, vcc
	s_lshl_b64 s[10:11], s[6:7], 2
	s_branch .LBB27_4
.LBB27_3:                               ;   in Loop: Header=BB27_4 Depth=1
	s_or_b64 exec, exec, s[14:15]
	v_lshl_add_u64 v[6:7], s[6:7], 2, v[6:7]
	v_cmp_ge_u64_e32 vcc, v[6:7], v[2:3]
	v_lshl_add_u64 v[24:25], v[12:13], 0, v[4:5]
	v_lshl_add_u64 v[26:27], v[8:9], 0, v[4:5]
	v_xor_b32_e32 v21, 0x80000000, v22
	s_or_b64 s[12:13], vcc, s[12:13]
	v_lshl_add_u64 v[4:5], v[4:5], 0, s[10:11]
	global_store_dword v[26:27], v22, off
	global_store_dword v[24:25], v21, off
	s_andn2_b64 exec, exec, s[12:13]
	s_cbranch_execz .LBB27_6
.LBB27_4:                               ; =>This Inner Loop Header: Depth=1
	v_lshl_add_u64 v[24:25], v[0:1], 0, v[4:5]
	v_lshl_add_u64 v[22:23], v[10:11], 0, v[4:5]
	global_load_dword v21, v[24:25], off
	global_load_dword v26, v[22:23], off
	v_mov_b32_e32 v22, 0
	s_waitcnt vmcnt(0)
	v_sub_f32_e32 v21, v21, v26
	v_cmp_eq_f32_e32 vcc, 0, v21
	s_and_b64 s[2:3], s[8:9], vcc
	s_nor_b64 s[2:3], s[0:1], s[2:3]
	s_and_saveexec_b64 s[14:15], s[2:3]
	s_cbranch_execz .LBB27_3
; %bb.5:                                ;   in Loop: Header=BB27_4 Depth=1
	v_cmp_lt_f32_e32 vcc, 0, v21
	s_nop 1
	v_cndmask_b32_e64 v22, 0, 1, vcc
	v_cmp_gt_f32_e32 vcc, 0, v21
	s_nop 1
	v_subbrev_co_u32_e32 v22, vcc, 0, v22, vcc
	v_cmp_neq_f32_e64 vcc, |v21|, 1.0
	v_cvt_f32_i32_e32 v36, v22
	s_nop 0
	v_cndmask_b32_e32 v37, 1.0, v15, vcc
	v_cmp_neq_f32_e32 vcc, 0, v37
	v_cmp_neq_f32_e64 s[2:3], v37, |v37|
	v_cmp_gt_f32_e64 s[4:5], 0, v37
	v_cndmask_b32_e64 v21, 1.0, |v21|, vcc
	v_frexp_mant_f32_e32 v22, v21
	v_cmp_gt_f32_e32 vcc, s18, v22
	s_nop 1
	v_cndmask_b32_e64 v23, 1.0, 2.0, vcc
	v_mul_f32_e32 v22, v22, v23
	v_add_f32_e32 v25, 1.0, v22
	v_rcp_f32_e32 v30, v25
	v_add_f32_e32 v23, -1.0, v25
	v_sub_f32_e32 v27, v22, v23
	v_add_f32_e32 v23, -1.0, v22
	v_mul_f32_e32 v31, v23, v30
	v_mul_f32_e32 v24, v25, v31
	v_fma_f32 v26, v31, v25, -v24
	v_fmac_f32_e32 v26, v31, v27
	v_add_f32_e32 v22, v24, v26
	v_sub_f32_e32 v25, v23, v22
	v_pk_add_f32 v[28:29], v[22:23], v[24:25] neg_lo:[0,1] neg_hi:[0,1]
	v_mov_b32_e32 v27, v22
	v_pk_add_f32 v[22:23], v[28:29], v[26:27] neg_lo:[0,1] neg_hi:[0,1]
	s_nop 0
	v_add_f32_e32 v22, v22, v23
	v_add_f32_e32 v22, v25, v22
	v_mul_f32_e32 v23, v30, v22
	v_add_f32_e32 v22, v31, v23
	v_sub_f32_e32 v24, v22, v31
	v_sub_f32_e32 v32, v23, v24
	v_mul_f32_e32 v23, v22, v22
	v_fma_f32 v25, v22, v22, -v23
	v_add_f32_e32 v24, v32, v32
	v_fmac_f32_e32 v25, v22, v24
	v_add_f32_e32 v24, v23, v25
	v_fmamk_f32 v26, v24, 0x3e76c4e1, v16
	v_fmaak_f32 v26, v24, v26, 0x3ecccdef
	v_sub_f32_e32 v23, v24, v23
	v_sub_f32_e32 v33, v25, v23
	v_mul_f32_e32 v23, v24, v26
	v_fma_f32 v25, v24, v26, -v23
	v_fmac_f32_e32 v25, v33, v26
	v_add_f32_e32 v26, v23, v25
	v_add_f32_e32 v27, 0x3f2aaaaa, v26
	v_sub_f32_e32 v23, v26, v23
	v_sub_f32_e32 v23, v25, v23
	v_add_f32_e32 v25, 0xbf2aaaaa, v27
	v_add_f32_e32 v23, 0x31739010, v23
	v_sub_f32_e32 v25, v26, v25
	v_pk_mul_f32 v[28:29], v[22:23], v[24:25]
	v_pk_add_f32 v[30:31], v[22:23], v[24:25]
	v_fma_f32 v26, v24, v22, -v28
	v_fmac_f32_e32 v26, v24, v32
	v_mov_b32_e32 v29, v31
	v_fmac_f32_e32 v26, v33, v22
	v_pk_add_f32 v[24:25], v[28:29], v[26:27]
	v_ldexp_f32 v34, v32, 1
	v_sub_f32_e32 v23, v24, v28
	v_sub_f32_e32 v23, v26, v23
	;; [unrolled: 1-line block ×3, first 2 shown]
	v_add_f32_e32 v30, v31, v26
	v_pk_mul_f32 v[26:27], v[24:25], v[24:25] op_sel:[0,1] op_sel_hi:[1,0]
	v_cvt_f64_f32_e32 v[28:29], v21
	v_frexp_exp_i32_f64_e32 v27, v[28:29]
	v_subbrev_co_u32_e32 v27, vcc, 0, v27, vcc
	v_cvt_f32_i32_e32 v27, v27
	v_fma_f32 v28, v24, v25, -v26
	v_fmac_f32_e32 v28, v24, v30
	v_fmac_f32_e32 v28, v23, v25
	v_mul_f32_e32 v24, 0x3f317218, v27
	v_fma_f32 v30, v27, s19, -v24
	v_fmac_f32_e32 v30, 0xb102e308, v27
	v_ldexp_f32 v31, v22, 1
	v_add_f32_e32 v25, v26, v28
	v_pk_add_f32 v[22:23], v[24:25], v[30:31]
	v_mov_b32_e32 v32, v25
	v_mov_b32_e32 v33, v23
	;; [unrolled: 1-line block ×3, first 2 shown]
	v_pk_add_f32 v[26:27], v[32:33], v[26:27] neg_lo:[0,1] neg_hi:[0,1]
	v_mov_b32_e32 v29, v25
	v_pk_add_f32 v[26:27], v[28:29], v[26:27] neg_lo:[0,1] neg_hi:[0,1]
	v_mov_b32_e32 v31, v22
	v_add_f32_e32 v25, v34, v26
	v_add_f32_e32 v25, v25, v27
	v_pk_add_f32 v[26:27], v[22:23], v[24:25] neg_lo:[0,1] neg_hi:[0,1]
	v_pk_add_f32 v[28:29], v[22:23], v[24:25]
	v_mov_b32_e32 v24, v25
	v_mov_b32_e32 v27, v29
	v_pk_add_f32 v[32:33], v[30:31], v[26:27] neg_lo:[0,1] neg_hi:[0,1]
	v_pk_add_f32 v[26:27], v[30:31], v[26:27]
	v_mov_b32_e32 v25, v22
	v_pk_add_f32 v[30:31], v[26:27], v[22:23] op_sel:[1,0] op_sel_hi:[0,1] neg_lo:[0,1] neg_hi:[0,1]
	v_pk_add_f32 v[34:35], v[28:29], v[30:31] op_sel_hi:[1,0] neg_lo:[0,1] neg_hi:[0,1]
	v_mov_b32_e32 v28, v29
	v_mov_b32_e32 v29, v27
	v_pk_mov_b32 v[30:31], v[22:23], v[30:31] op_sel:[1,0]
	v_mov_b32_e32 v34, v32
	v_pk_add_f32 v[28:29], v[28:29], v[30:31] neg_lo:[0,1] neg_hi:[0,1]
	v_mov_b32_e32 v33, v27
	v_pk_add_f32 v[22:23], v[24:25], v[28:29] neg_lo:[0,1] neg_hi:[0,1]
	s_nop 0
	v_pk_add_f32 v[24:25], v[34:35], v[22:23]
	s_nop 0
	v_pk_add_f32 v[28:29], v[24:25], v[24:25] op_sel:[0,1] op_sel_hi:[1,0]
	s_nop 0
	v_pk_add_f32 v[26:27], v[26:27], v[28:29] op_sel:[1,0] op_sel_hi:[0,1]
	v_mov_b32_e32 v25, v26
	v_pk_add_f32 v[30:31], v[24:25], v[32:33] neg_lo:[0,1] neg_hi:[0,1]
	v_mov_b32_e32 v23, v28
	v_sub_f32_e32 v24, v24, v30
	v_pk_add_f32 v[22:23], v[22:23], v[30:31] neg_lo:[0,1] neg_hi:[0,1]
	v_sub_f32_e32 v24, v32, v24
	v_add_f32_e32 v22, v22, v24
	v_add_f32_e32 v22, v22, v23
	v_add_f32_e32 v23, v26, v22
	v_sub_f32_e32 v24, v23, v26
	v_sub_f32_e32 v22, v22, v24
	v_mul_f32_e32 v24, v37, v23
	v_fma_f32 v23, v37, v23, -v24
	v_fmac_f32_e32 v23, v37, v22
	v_add_f32_e32 v22, v24, v23
	v_cmp_class_f32_e64 vcc, v24, s20
	v_sub_f32_e32 v25, v22, v24
	v_sub_f32_e32 v23, v23, v25
	v_cndmask_b32_e32 v22, v22, v24, vcc
	v_cmp_eq_f32_e32 vcc, s22, v22
	s_nop 1
	v_cndmask_b32_e32 v24, 0, v17, vcc
	v_sub_f32_e32 v25, v22, v24
	v_mul_f32_e32 v26, 0x3fb8aa3b, v25
	v_fma_f32 v27, v25, s23, -v26
	v_rndne_f32_e32 v28, v26
	v_fmac_f32_e32 v27, 0x32a5705f, v25
	v_sub_f32_e32 v26, v26, v28
	v_add_f32_e32 v26, v26, v27
	v_exp_f32_e32 v26, v26
	v_cvt_i32_f32_e32 v27, v28
	v_cmp_neq_f32_e64 vcc, |v22|, s21
	s_nop 1
	v_cndmask_b32_e32 v22, 0, v23, vcc
	v_ldexp_f32 v23, v26, v27
	v_cmp_ngt_f32_e32 vcc, s24, v25
	v_add_f32_e32 v22, v24, v22
	s_nop 0
	v_cndmask_b32_e32 v23, 0, v23, vcc
	v_cmp_nlt_f32_e32 vcc, s22, v25
	s_nop 1
	v_cndmask_b32_e32 v23, v18, v23, vcc
	v_fma_f32 v22, v23, v22, v23
	v_cmp_class_f32_e64 vcc, v23, s20
	s_nop 1
	v_cndmask_b32_e32 v22, v22, v23, vcc
	v_cmp_gt_f32_e32 vcc, 1.0, v21
	s_xor_b64 s[2:3], s[2:3], vcc
	v_cndmask_b32_e64 v23, v18, 0, s[2:3]
	v_cmp_neq_f32_e32 vcc, 1.0, v21
	v_cmp_class_f32_e64 s[2:3], v37, s20
	s_nop 0
	v_cndmask_b32_e32 v23, 1.0, v23, vcc
	v_cndmask_b32_e64 v22, |v22|, v23, s[2:3]
	v_cmp_eq_f32_e64 s[2:3], 0, v21
	v_cmp_eq_f32_e32 vcc, s21, v21
	s_xor_b64 s[4:5], s[4:5], s[2:3]
	v_cndmask_b32_e64 v23, v18, 0, s[4:5]
	s_or_b64 vcc, s[2:3], vcc
	v_cndmask_b32_e32 v22, v22, v23, vcc
	v_cmp_o_f32_e32 vcc, v21, v37
	s_nop 1
	v_cndmask_b32_e32 v21, v19, v22, vcc
	v_mul_f32_e32 v21, v21, v36
	v_mul_f32_e32 v21, v14, v21
	v_div_scale_f32 v22, s[2:3], v20, v20, v21
	v_rcp_f32_e32 v23, v22
	s_nop 0
	v_fma_f32 v24, -v22, v23, 1.0
	v_fmac_f32_e32 v23, v24, v23
	v_div_scale_f32 v24, vcc, v21, v20, v21
	v_mul_f32_e32 v25, v24, v23
	v_fma_f32 v26, -v22, v25, v24
	v_fmac_f32_e32 v25, v26, v23
	v_fma_f32 v22, -v22, v25, v24
	v_div_fmas_f32 v22, v22, v23, v25
	v_div_fixup_f32 v22, v22, v20, v21
	s_branch .LBB27_3
.LBB27_6:
	s_endpgm
	.section	.rodata,"a",@progbits
	.p2align	6, 0x0
	.amdhsa_kernel _ZN2at6native12_GLOBAL__N_131pdist_backward_kernel_cuda_implIfNS1_5distsIfE6lt_twoEEEvPT_PKS6_S9_S9_llllS6_dd
		.amdhsa_group_segment_fixed_size 0
		.amdhsa_private_segment_fixed_size 0
		.amdhsa_kernarg_size 344
		.amdhsa_user_sgpr_count 2
		.amdhsa_user_sgpr_dispatch_ptr 0
		.amdhsa_user_sgpr_queue_ptr 0
		.amdhsa_user_sgpr_kernarg_segment_ptr 1
		.amdhsa_user_sgpr_dispatch_id 0
		.amdhsa_user_sgpr_kernarg_preload_length 0
		.amdhsa_user_sgpr_kernarg_preload_offset 0
		.amdhsa_user_sgpr_private_segment_size 0
		.amdhsa_uses_dynamic_stack 0
		.amdhsa_enable_private_segment 0
		.amdhsa_system_sgpr_workgroup_id_x 1
		.amdhsa_system_sgpr_workgroup_id_y 1
		.amdhsa_system_sgpr_workgroup_id_z 0
		.amdhsa_system_sgpr_workgroup_info 0
		.amdhsa_system_vgpr_workitem_id 1
		.amdhsa_next_free_vgpr 38
		.amdhsa_next_free_sgpr 26
		.amdhsa_accum_offset 40
		.amdhsa_reserve_vcc 1
		.amdhsa_float_round_mode_32 0
		.amdhsa_float_round_mode_16_64 0
		.amdhsa_float_denorm_mode_32 3
		.amdhsa_float_denorm_mode_16_64 3
		.amdhsa_dx10_clamp 1
		.amdhsa_ieee_mode 1
		.amdhsa_fp16_overflow 0
		.amdhsa_tg_split 0
		.amdhsa_exception_fp_ieee_invalid_op 0
		.amdhsa_exception_fp_denorm_src 0
		.amdhsa_exception_fp_ieee_div_zero 0
		.amdhsa_exception_fp_ieee_overflow 0
		.amdhsa_exception_fp_ieee_underflow 0
		.amdhsa_exception_fp_ieee_inexact 0
		.amdhsa_exception_int_div_zero 0
	.end_amdhsa_kernel
	.section	.text._ZN2at6native12_GLOBAL__N_131pdist_backward_kernel_cuda_implIfNS1_5distsIfE6lt_twoEEEvPT_PKS6_S9_S9_llllS6_dd,"axG",@progbits,_ZN2at6native12_GLOBAL__N_131pdist_backward_kernel_cuda_implIfNS1_5distsIfE6lt_twoEEEvPT_PKS6_S9_S9_llllS6_dd,comdat
.Lfunc_end27:
	.size	_ZN2at6native12_GLOBAL__N_131pdist_backward_kernel_cuda_implIfNS1_5distsIfE6lt_twoEEEvPT_PKS6_S9_S9_llllS6_dd, .Lfunc_end27-_ZN2at6native12_GLOBAL__N_131pdist_backward_kernel_cuda_implIfNS1_5distsIfE6lt_twoEEEvPT_PKS6_S9_S9_llllS6_dd
                                        ; -- End function
	.set _ZN2at6native12_GLOBAL__N_131pdist_backward_kernel_cuda_implIfNS1_5distsIfE6lt_twoEEEvPT_PKS6_S9_S9_llllS6_dd.num_vgpr, 38
	.set _ZN2at6native12_GLOBAL__N_131pdist_backward_kernel_cuda_implIfNS1_5distsIfE6lt_twoEEEvPT_PKS6_S9_S9_llllS6_dd.num_agpr, 0
	.set _ZN2at6native12_GLOBAL__N_131pdist_backward_kernel_cuda_implIfNS1_5distsIfE6lt_twoEEEvPT_PKS6_S9_S9_llllS6_dd.numbered_sgpr, 26
	.set _ZN2at6native12_GLOBAL__N_131pdist_backward_kernel_cuda_implIfNS1_5distsIfE6lt_twoEEEvPT_PKS6_S9_S9_llllS6_dd.num_named_barrier, 0
	.set _ZN2at6native12_GLOBAL__N_131pdist_backward_kernel_cuda_implIfNS1_5distsIfE6lt_twoEEEvPT_PKS6_S9_S9_llllS6_dd.private_seg_size, 0
	.set _ZN2at6native12_GLOBAL__N_131pdist_backward_kernel_cuda_implIfNS1_5distsIfE6lt_twoEEEvPT_PKS6_S9_S9_llllS6_dd.uses_vcc, 1
	.set _ZN2at6native12_GLOBAL__N_131pdist_backward_kernel_cuda_implIfNS1_5distsIfE6lt_twoEEEvPT_PKS6_S9_S9_llllS6_dd.uses_flat_scratch, 0
	.set _ZN2at6native12_GLOBAL__N_131pdist_backward_kernel_cuda_implIfNS1_5distsIfE6lt_twoEEEvPT_PKS6_S9_S9_llllS6_dd.has_dyn_sized_stack, 0
	.set _ZN2at6native12_GLOBAL__N_131pdist_backward_kernel_cuda_implIfNS1_5distsIfE6lt_twoEEEvPT_PKS6_S9_S9_llllS6_dd.has_recursion, 0
	.set _ZN2at6native12_GLOBAL__N_131pdist_backward_kernel_cuda_implIfNS1_5distsIfE6lt_twoEEEvPT_PKS6_S9_S9_llllS6_dd.has_indirect_call, 0
	.section	.AMDGPU.csdata,"",@progbits
; Kernel info:
; codeLenInByte = 3112
; TotalNumSgprs: 32
; NumVgprs: 38
; NumAgprs: 0
; TotalNumVgprs: 38
; ScratchSize: 0
; MemoryBound: 0
; FloatMode: 240
; IeeeMode: 1
; LDSByteSize: 0 bytes/workgroup (compile time only)
; SGPRBlocks: 3
; VGPRBlocks: 4
; NumSGPRsForWavesPerEU: 32
; NumVGPRsForWavesPerEU: 38
; AccumOffset: 40
; Occupancy: 8
; WaveLimiterHint : 0
; COMPUTE_PGM_RSRC2:SCRATCH_EN: 0
; COMPUTE_PGM_RSRC2:USER_SGPR: 2
; COMPUTE_PGM_RSRC2:TRAP_HANDLER: 0
; COMPUTE_PGM_RSRC2:TGID_X_EN: 1
; COMPUTE_PGM_RSRC2:TGID_Y_EN: 1
; COMPUTE_PGM_RSRC2:TGID_Z_EN: 0
; COMPUTE_PGM_RSRC2:TIDIG_COMP_CNT: 1
; COMPUTE_PGM_RSRC3_GFX90A:ACCUM_OFFSET: 9
; COMPUTE_PGM_RSRC3_GFX90A:TG_SPLIT: 0
	.section	.text._ZN2at6native12_GLOBAL__N_131pdist_backward_kernel_cuda_implIfNS1_5distsIfE3twoEEEvPT_PKS6_S9_S9_llllS6_dd,"axG",@progbits,_ZN2at6native12_GLOBAL__N_131pdist_backward_kernel_cuda_implIfNS1_5distsIfE3twoEEEvPT_PKS6_S9_S9_llllS6_dd,comdat
	.globl	_ZN2at6native12_GLOBAL__N_131pdist_backward_kernel_cuda_implIfNS1_5distsIfE3twoEEEvPT_PKS6_S9_S9_llllS6_dd ; -- Begin function _ZN2at6native12_GLOBAL__N_131pdist_backward_kernel_cuda_implIfNS1_5distsIfE3twoEEEvPT_PKS6_S9_S9_llllS6_dd
	.p2align	8
	.type	_ZN2at6native12_GLOBAL__N_131pdist_backward_kernel_cuda_implIfNS1_5distsIfE3twoEEEvPT_PKS6_S9_S9_llllS6_dd,@function
_ZN2at6native12_GLOBAL__N_131pdist_backward_kernel_cuda_implIfNS1_5distsIfE3twoEEEvPT_PKS6_S9_S9_llllS6_dd: ; @_ZN2at6native12_GLOBAL__N_131pdist_backward_kernel_cuda_implIfNS1_5distsIfE3twoEEEvPT_PKS6_S9_S9_llllS6_dd
; %bb.0:
	s_load_dwordx16 s[4:19], s[0:1], 0x0
	s_load_dword s20, s[0:1], 0x64
	s_add_u32 s24, s0, 0x58
	s_addc_u32 s25, s1, 0
	v_and_b32_e32 v2, 0x3ff, v0
	v_mov_b32_e32 v3, 0
	s_waitcnt lgkmcnt(0)
	s_and_b32 s21, s20, 0xffff
	v_mov_b32_e32 v1, s2
	v_mad_u64_u32 v[2:3], s[22:23], s21, v1, v[2:3]
	v_cmp_gt_i64_e32 vcc, s[18:19], v[2:3]
	s_and_saveexec_b64 s[18:19], vcc
	s_cbranch_execz .LBB28_6
; %bb.1:
	s_lshr_b32 s2, s20, 16
	s_mul_i32 s3, s3, s2
	v_bfe_u32 v0, v0, 10, 10
	v_add_u32_e32 v6, s3, v0
	v_ashrrev_i32_e32 v7, 31, v6
	v_cmp_gt_i64_e32 vcc, s[16:17], v[6:7]
	s_and_b64 exec, exec, vcc
	s_cbranch_execz .LBB28_6
; %bb.2:
	s_load_dwordx4 s[20:23], s[0:1], 0x48
	v_lshlrev_b64 v[4:5], 1, v[2:3]
	v_cvt_f64_u32_e32 v[8:9], v5
	v_ldexp_f64 v[8:9], v[8:9], 32
	v_cvt_f64_u32_e32 v[4:5], v4
	v_add_f64 v[4:5], v[8:9], v[4:5]
	s_mov_b32 s0, 0
	s_waitcnt lgkmcnt(0)
	v_add_f64 v[4:5], s[22:23], -v[4:5]
	s_brev_b32 s1, 8
	v_mov_b32_e32 v8, 0x100
	v_cmp_gt_f64_e32 vcc, s[0:1], v[4:5]
	v_mov_b32_e32 v10, s10
	v_mov_b32_e32 v11, s11
	v_cndmask_b32_e32 v8, 0, v8, vcc
	v_ldexp_f64 v[4:5], v[4:5], v8
	v_rsq_f64_e32 v[8:9], v[4:5]
	v_lshl_add_u64 v[10:11], v[2:3], 2, v[10:11]
	v_mov_b32_e32 v0, s6
	v_mov_b32_e32 v1, s7
	v_mul_f64 v[12:13], v[4:5], v[8:9]
	v_mul_f64 v[8:9], v[8:9], 0.5
	v_fma_f64 v[14:15], -v[8:9], v[12:13], 0.5
	v_fmac_f64_e32 v[12:13], v[12:13], v[14:15]
	v_fma_f64 v[16:17], -v[12:13], v[12:13], v[4:5]
	v_fmac_f64_e32 v[8:9], v[8:9], v[14:15]
	v_fmac_f64_e32 v[12:13], v[16:17], v[8:9]
	v_fma_f64 v[14:15], -v[12:13], v[12:13], v[4:5]
	v_fmac_f64_e32 v[12:13], v[14:15], v[8:9]
	v_mov_b32_e32 v8, 0xffffff80
	v_cndmask_b32_e32 v8, 0, v8, vcc
	global_load_dword v14, v[10:11], off
	v_mov_b32_e32 v10, 0x260
	v_ldexp_f64 v[8:9], v[12:13], v8
	v_cmp_class_f64_e32 vcc, v[4:5], v10
	v_mul_lo_u32 v12, v2, s13
	v_mad_u64_u32 v[10:11], s[0:1], v2, s12, 0
	v_cndmask_b32_e32 v5, v9, v5, vcc
	v_mul_lo_u32 v9, v3, s12
	v_add3_u32 v11, v11, v12, v9
	v_lshl_add_u64 v[0:1], v[10:11], 2, v[0:1]
	global_load_dword v15, v[0:1], off
	v_cndmask_b32_e32 v4, v8, v4, vcc
	v_add_f64 v[0:1], s[20:21], -v[4:5]
	v_trunc_f64_e32 v[0:1], v[0:1]
	s_movk_i32 s0, 0xffe0
	v_ldexp_f64 v[4:5], v[0:1], s0
	v_floor_f64_e32 v[4:5], v[4:5]
	v_fmac_f64_e32 v[0:1], 0xc1f00000, v[4:5]
	v_cvt_u32_f64_e32 v10, v[0:1]
	v_cvt_i32_f64_e32 v11, v[4:5]
	v_lshl_add_u64 v[12:13], v[10:11], 0, 1
	v_mul_lo_u32 v18, v13, v10
	v_mul_hi_u32 v16, v12, v10
	v_mul_lo_u32 v19, v12, v11
	v_add3_u32 v16, v16, v19, v18
	v_lshrrev_b32_e32 v16, 31, v16
	v_mov_b32_e32 v17, 0
	v_mad_u64_u32 v[16:17], s[0:1], v12, v10, v[16:17]
	v_add3_u32 v17, v18, v17, v19
	v_mul_lo_u32 v20, s15, v10
	v_mad_u64_u32 v[18:19], s[0:1], s14, v10, 0
	v_mul_lo_u32 v21, s14, v11
	v_add3_u32 v19, v19, v21, v20
	v_sub_co_u32_e32 v2, vcc, v2, v18
	v_ashrrev_i64 v[16:17], 1, v[16:17]
	s_nop 0
	v_subb_co_u32_e32 v3, vcc, v3, v19, vcc
	v_lshl_add_u64 v[2:3], v[16:17], 0, v[2:3]
	v_mov_b32_e32 v17, s15
	v_sub_co_u32_e32 v16, vcc, s14, v10
	v_lshl_add_u64 v[12:13], v[12:13], 0, v[2:3]
	s_nop 0
	v_subb_co_u32_e32 v17, vcc, v17, v11, vcc
	v_lshl_add_u64 v[16:17], v[16:17], 0, -2
	s_load_dword s3, s[24:25], 0x4
	v_mad_u64_u32 v[18:19], s[0:1], v16, s14, v[12:13]
	v_mul_lo_u32 v16, v16, s15
	v_mul_lo_u32 v17, v17, s14
	v_add3_u32 v16, v17, v19, v16
	v_mul_lo_u32 v17, v2, s15
	v_mul_lo_u32 v19, v3, s14
	v_mad_u64_u32 v[2:3], s[0:1], v2, s14, v[10:11]
	v_add3_u32 v3, v19, v3, v17
	v_mul_lo_u32 v4, s17, v10
	v_mad_u64_u32 v[0:1], s[0:1], s16, v10, 0
	v_mul_lo_u32 v5, s16, v11
	v_mul_lo_u32 v10, v3, s16
	;; [unrolled: 1-line block ×3, first 2 shown]
	v_mad_u64_u32 v[2:3], s[0:1], v2, s16, 0
	v_add3_u32 v3, v3, v11, v10
	v_mul_lo_u32 v13, v13, s16
	v_mul_lo_u32 v17, v12, s17
	v_mad_u64_u32 v[10:11], s[0:1], v12, s16, 0
	v_add3_u32 v1, v1, v5, v4
	s_waitcnt lgkmcnt(0)
	s_mul_i32 s2, s3, s2
	v_add3_u32 v11, v11, v17, v13
	v_mul_lo_u32 v17, s17, v18
	v_mul_lo_u32 v16, s16, v16
	v_mad_u64_u32 v[12:13], s[6:7], s16, v18, 0
	v_lshl_add_u64 v[0:1], v[0:1], 2, s[8:9]
	v_lshlrev_b64 v[6:7], 2, v[6:7]
	s_ashr_i32 s3, s2, 31
	v_add3_u32 v13, v13, v16, v17
	v_lshl_add_u64 v[4:5], s[16:17], 2, v[0:1]
	v_lshl_add_u64 v[8:9], v[0:1], 0, v[6:7]
	;; [unrolled: 1-line block ×4, first 2 shown]
	s_waitcnt vmcnt(1)
	v_cmp_neq_f32_e64 s[0:1], 0, v14
	v_lshl_add_u64 v[12:13], v[12:13], 2, s[4:5]
	s_lshl_b64 s[4:5], s[2:3], 2
	s_mov_b64 s[6:7], 0
	s_branch .LBB28_4
.LBB28_3:                               ;   in Loop: Header=BB28_4 Depth=1
	s_or_b64 exec, exec, s[8:9]
	v_lshl_add_u64 v[8:9], s[2:3], 2, v[8:9]
	v_lshl_add_u64 v[20:21], v[2:3], 0, v[6:7]
	v_cmp_ge_u64_e32 vcc, v[8:9], v[4:5]
	v_lshl_add_u64 v[18:19], v[12:13], 0, v[6:7]
	global_store_dword v[20:21], v16, off
	v_xor_b32_e32 v16, 0x80000000, v16
	s_or_b64 s[6:7], vcc, s[6:7]
	v_lshl_add_u64 v[6:7], v[6:7], 0, s[4:5]
	global_store_dword v[18:19], v16, off
	s_andn2_b64 exec, exec, s[6:7]
	s_cbranch_execz .LBB28_6
.LBB28_4:                               ; =>This Inner Loop Header: Depth=1
	v_mov_b32_e32 v16, 0
	s_and_saveexec_b64 s[8:9], s[0:1]
	s_cbranch_execz .LBB28_3
; %bb.5:                                ;   in Loop: Header=BB28_4 Depth=1
	v_lshl_add_u64 v[18:19], v[0:1], 0, v[6:7]
	v_lshl_add_u64 v[16:17], v[10:11], 0, v[6:7]
	global_load_dword v20, v[18:19], off
	global_load_dword v21, v[16:17], off
	s_waitcnt vmcnt(0)
	v_sub_f32_e32 v16, v20, v21
	v_mul_f32_e32 v16, v15, v16
	v_div_scale_f32 v17, s[10:11], v14, v14, v16
	v_rcp_f32_e32 v18, v17
	v_div_scale_f32 v19, vcc, v16, v14, v16
	v_fma_f32 v20, -v17, v18, 1.0
	v_fmac_f32_e32 v18, v20, v18
	v_mul_f32_e32 v20, v19, v18
	v_fma_f32 v21, -v17, v20, v19
	v_fmac_f32_e32 v20, v21, v18
	v_fma_f32 v17, -v17, v20, v19
	v_div_fmas_f32 v17, v17, v18, v20
	v_div_fixup_f32 v16, v17, v14, v16
	s_branch .LBB28_3
.LBB28_6:
	s_endpgm
	.section	.rodata,"a",@progbits
	.p2align	6, 0x0
	.amdhsa_kernel _ZN2at6native12_GLOBAL__N_131pdist_backward_kernel_cuda_implIfNS1_5distsIfE3twoEEEvPT_PKS6_S9_S9_llllS6_dd
		.amdhsa_group_segment_fixed_size 0
		.amdhsa_private_segment_fixed_size 0
		.amdhsa_kernarg_size 344
		.amdhsa_user_sgpr_count 2
		.amdhsa_user_sgpr_dispatch_ptr 0
		.amdhsa_user_sgpr_queue_ptr 0
		.amdhsa_user_sgpr_kernarg_segment_ptr 1
		.amdhsa_user_sgpr_dispatch_id 0
		.amdhsa_user_sgpr_kernarg_preload_length 0
		.amdhsa_user_sgpr_kernarg_preload_offset 0
		.amdhsa_user_sgpr_private_segment_size 0
		.amdhsa_uses_dynamic_stack 0
		.amdhsa_enable_private_segment 0
		.amdhsa_system_sgpr_workgroup_id_x 1
		.amdhsa_system_sgpr_workgroup_id_y 1
		.amdhsa_system_sgpr_workgroup_id_z 0
		.amdhsa_system_sgpr_workgroup_info 0
		.amdhsa_system_vgpr_workitem_id 1
		.amdhsa_next_free_vgpr 22
		.amdhsa_next_free_sgpr 26
		.amdhsa_accum_offset 24
		.amdhsa_reserve_vcc 1
		.amdhsa_float_round_mode_32 0
		.amdhsa_float_round_mode_16_64 0
		.amdhsa_float_denorm_mode_32 3
		.amdhsa_float_denorm_mode_16_64 3
		.amdhsa_dx10_clamp 1
		.amdhsa_ieee_mode 1
		.amdhsa_fp16_overflow 0
		.amdhsa_tg_split 0
		.amdhsa_exception_fp_ieee_invalid_op 0
		.amdhsa_exception_fp_denorm_src 0
		.amdhsa_exception_fp_ieee_div_zero 0
		.amdhsa_exception_fp_ieee_overflow 0
		.amdhsa_exception_fp_ieee_underflow 0
		.amdhsa_exception_fp_ieee_inexact 0
		.amdhsa_exception_int_div_zero 0
	.end_amdhsa_kernel
	.section	.text._ZN2at6native12_GLOBAL__N_131pdist_backward_kernel_cuda_implIfNS1_5distsIfE3twoEEEvPT_PKS6_S9_S9_llllS6_dd,"axG",@progbits,_ZN2at6native12_GLOBAL__N_131pdist_backward_kernel_cuda_implIfNS1_5distsIfE3twoEEEvPT_PKS6_S9_S9_llllS6_dd,comdat
.Lfunc_end28:
	.size	_ZN2at6native12_GLOBAL__N_131pdist_backward_kernel_cuda_implIfNS1_5distsIfE3twoEEEvPT_PKS6_S9_S9_llllS6_dd, .Lfunc_end28-_ZN2at6native12_GLOBAL__N_131pdist_backward_kernel_cuda_implIfNS1_5distsIfE3twoEEEvPT_PKS6_S9_S9_llllS6_dd
                                        ; -- End function
	.set _ZN2at6native12_GLOBAL__N_131pdist_backward_kernel_cuda_implIfNS1_5distsIfE3twoEEEvPT_PKS6_S9_S9_llllS6_dd.num_vgpr, 22
	.set _ZN2at6native12_GLOBAL__N_131pdist_backward_kernel_cuda_implIfNS1_5distsIfE3twoEEEvPT_PKS6_S9_S9_llllS6_dd.num_agpr, 0
	.set _ZN2at6native12_GLOBAL__N_131pdist_backward_kernel_cuda_implIfNS1_5distsIfE3twoEEEvPT_PKS6_S9_S9_llllS6_dd.numbered_sgpr, 26
	.set _ZN2at6native12_GLOBAL__N_131pdist_backward_kernel_cuda_implIfNS1_5distsIfE3twoEEEvPT_PKS6_S9_S9_llllS6_dd.num_named_barrier, 0
	.set _ZN2at6native12_GLOBAL__N_131pdist_backward_kernel_cuda_implIfNS1_5distsIfE3twoEEEvPT_PKS6_S9_S9_llllS6_dd.private_seg_size, 0
	.set _ZN2at6native12_GLOBAL__N_131pdist_backward_kernel_cuda_implIfNS1_5distsIfE3twoEEEvPT_PKS6_S9_S9_llllS6_dd.uses_vcc, 1
	.set _ZN2at6native12_GLOBAL__N_131pdist_backward_kernel_cuda_implIfNS1_5distsIfE3twoEEEvPT_PKS6_S9_S9_llllS6_dd.uses_flat_scratch, 0
	.set _ZN2at6native12_GLOBAL__N_131pdist_backward_kernel_cuda_implIfNS1_5distsIfE3twoEEEvPT_PKS6_S9_S9_llllS6_dd.has_dyn_sized_stack, 0
	.set _ZN2at6native12_GLOBAL__N_131pdist_backward_kernel_cuda_implIfNS1_5distsIfE3twoEEEvPT_PKS6_S9_S9_llllS6_dd.has_recursion, 0
	.set _ZN2at6native12_GLOBAL__N_131pdist_backward_kernel_cuda_implIfNS1_5distsIfE3twoEEEvPT_PKS6_S9_S9_llllS6_dd.has_indirect_call, 0
	.section	.AMDGPU.csdata,"",@progbits
; Kernel info:
; codeLenInByte = 1080
; TotalNumSgprs: 32
; NumVgprs: 22
; NumAgprs: 0
; TotalNumVgprs: 22
; ScratchSize: 0
; MemoryBound: 0
; FloatMode: 240
; IeeeMode: 1
; LDSByteSize: 0 bytes/workgroup (compile time only)
; SGPRBlocks: 3
; VGPRBlocks: 2
; NumSGPRsForWavesPerEU: 32
; NumVGPRsForWavesPerEU: 22
; AccumOffset: 24
; Occupancy: 8
; WaveLimiterHint : 0
; COMPUTE_PGM_RSRC2:SCRATCH_EN: 0
; COMPUTE_PGM_RSRC2:USER_SGPR: 2
; COMPUTE_PGM_RSRC2:TRAP_HANDLER: 0
; COMPUTE_PGM_RSRC2:TGID_X_EN: 1
; COMPUTE_PGM_RSRC2:TGID_Y_EN: 1
; COMPUTE_PGM_RSRC2:TGID_Z_EN: 0
; COMPUTE_PGM_RSRC2:TIDIG_COMP_CNT: 1
; COMPUTE_PGM_RSRC3_GFX90A:ACCUM_OFFSET: 5
; COMPUTE_PGM_RSRC3_GFX90A:TG_SPLIT: 0
	.section	.text._ZN2at6native12_GLOBAL__N_131pdist_backward_kernel_cuda_implIfNS1_5distsIfE3infEEEvPT_PKS6_S9_S9_llllS6_dd,"axG",@progbits,_ZN2at6native12_GLOBAL__N_131pdist_backward_kernel_cuda_implIfNS1_5distsIfE3infEEEvPT_PKS6_S9_S9_llllS6_dd,comdat
	.globl	_ZN2at6native12_GLOBAL__N_131pdist_backward_kernel_cuda_implIfNS1_5distsIfE3infEEEvPT_PKS6_S9_S9_llllS6_dd ; -- Begin function _ZN2at6native12_GLOBAL__N_131pdist_backward_kernel_cuda_implIfNS1_5distsIfE3infEEEvPT_PKS6_S9_S9_llllS6_dd
	.p2align	8
	.type	_ZN2at6native12_GLOBAL__N_131pdist_backward_kernel_cuda_implIfNS1_5distsIfE3infEEEvPT_PKS6_S9_S9_llllS6_dd,@function
_ZN2at6native12_GLOBAL__N_131pdist_backward_kernel_cuda_implIfNS1_5distsIfE3infEEEvPT_PKS6_S9_S9_llllS6_dd: ; @_ZN2at6native12_GLOBAL__N_131pdist_backward_kernel_cuda_implIfNS1_5distsIfE3infEEEvPT_PKS6_S9_S9_llllS6_dd
; %bb.0:
	s_load_dwordx16 s[4:19], s[0:1], 0x0
	s_load_dword s20, s[0:1], 0x64
	s_add_u32 s24, s0, 0x58
	s_addc_u32 s25, s1, 0
	v_and_b32_e32 v2, 0x3ff, v0
	v_mov_b32_e32 v3, 0
	s_waitcnt lgkmcnt(0)
	s_and_b32 s21, s20, 0xffff
	v_mov_b32_e32 v1, s2
	v_mad_u64_u32 v[2:3], s[22:23], s21, v1, v[2:3]
	v_cmp_gt_i64_e32 vcc, s[18:19], v[2:3]
	s_and_saveexec_b64 s[18:19], vcc
	s_cbranch_execz .LBB29_4
; %bb.1:
	s_lshr_b32 s2, s20, 16
	s_mul_i32 s3, s3, s2
	v_bfe_u32 v0, v0, 10, 10
	v_add_u32_e32 v6, s3, v0
	v_ashrrev_i32_e32 v7, 31, v6
	v_cmp_gt_i64_e32 vcc, s[16:17], v[6:7]
	s_and_b64 exec, exec, vcc
	s_cbranch_execz .LBB29_4
; %bb.2:
	s_load_dwordx4 s[20:23], s[0:1], 0x48
	v_lshlrev_b64 v[4:5], 1, v[2:3]
	v_cvt_f64_u32_e32 v[8:9], v5
	v_ldexp_f64 v[8:9], v[8:9], 32
	v_cvt_f64_u32_e32 v[4:5], v4
	v_add_f64 v[4:5], v[8:9], v[4:5]
	s_mov_b32 s0, 0
	s_waitcnt lgkmcnt(0)
	v_add_f64 v[4:5], s[22:23], -v[4:5]
	s_brev_b32 s1, 8
	v_mov_b32_e32 v8, 0x100
	v_cmp_gt_f64_e32 vcc, s[0:1], v[4:5]
	v_mov_b32_e32 v0, s6
	v_mov_b32_e32 v1, s7
	v_cndmask_b32_e32 v8, 0, v8, vcc
	v_ldexp_f64 v[4:5], v[4:5], v8
	v_rsq_f64_e32 v[8:9], v[4:5]
	v_mov_b32_e32 v10, s10
	v_mov_b32_e32 v11, s11
	s_load_dword s3, s[24:25], 0x4
	v_mul_f64 v[12:13], v[4:5], v[8:9]
	v_mul_f64 v[8:9], v[8:9], 0.5
	v_fma_f64 v[14:15], -v[8:9], v[12:13], 0.5
	v_fmac_f64_e32 v[12:13], v[12:13], v[14:15]
	v_fma_f64 v[16:17], -v[12:13], v[12:13], v[4:5]
	v_fmac_f64_e32 v[8:9], v[8:9], v[14:15]
	v_fmac_f64_e32 v[12:13], v[16:17], v[8:9]
	v_fma_f64 v[14:15], -v[12:13], v[12:13], v[4:5]
	v_fmac_f64_e32 v[12:13], v[14:15], v[8:9]
	v_mov_b32_e32 v8, 0xffffff80
	v_cndmask_b32_e32 v8, 0, v8, vcc
	v_ldexp_f64 v[8:9], v[12:13], v8
	v_mul_lo_u32 v14, v3, s12
	v_mul_lo_u32 v15, v2, s13
	v_mad_u64_u32 v[12:13], s[0:1], v2, s12, 0
	v_add3_u32 v13, v13, v15, v14
	v_lshl_add_u64 v[0:1], v[12:13], 2, v[0:1]
	global_load_dword v14, v[0:1], off
	v_lshl_add_u64 v[0:1], v[2:3], 2, v[10:11]
	global_load_dword v15, v[0:1], off
	v_mov_b32_e32 v16, 0x260
	v_cmp_class_f64_e32 vcc, v[4:5], v16
	s_movk_i32 s0, 0xffe0
	v_mov_b32_e32 v17, 0
	v_cndmask_b32_e32 v1, v9, v5, vcc
	v_cndmask_b32_e32 v0, v8, v4, vcc
	v_add_f64 v[0:1], s[20:21], -v[0:1]
	v_trunc_f64_e32 v[0:1], v[0:1]
	v_ldexp_f64 v[4:5], v[0:1], s0
	v_floor_f64_e32 v[4:5], v[4:5]
	v_fmac_f64_e32 v[0:1], 0xc1f00000, v[4:5]
	v_cvt_u32_f64_e32 v10, v[0:1]
	v_cvt_i32_f64_e32 v11, v[4:5]
	v_lshl_add_u64 v[12:13], v[10:11], 0, 1
	v_mul_lo_u32 v18, v13, v10
	v_mul_hi_u32 v16, v12, v10
	v_mul_lo_u32 v19, v12, v11
	v_add3_u32 v16, v16, v19, v18
	v_mad_u64_u32 v[0:1], s[0:1], s16, v10, 0
	v_lshrrev_b32_e32 v16, 31, v16
	s_waitcnt lgkmcnt(0)
	s_mul_i32 s0, s3, s2
	v_mad_u64_u32 v[16:17], s[2:3], v12, v10, v[16:17]
	v_add3_u32 v17, v18, v17, v19
	v_mul_lo_u32 v20, s15, v10
	v_mad_u64_u32 v[18:19], s[2:3], s14, v10, 0
	v_mul_lo_u32 v21, s14, v11
	v_add3_u32 v19, v19, v21, v20
	v_sub_co_u32_e32 v2, vcc, v2, v18
	v_ashrrev_i64 v[16:17], 1, v[16:17]
	s_nop 0
	v_subb_co_u32_e32 v3, vcc, v3, v19, vcc
	v_lshl_add_u64 v[2:3], v[16:17], 0, v[2:3]
	v_mov_b32_e32 v17, s15
	v_sub_co_u32_e32 v16, vcc, s14, v10
	v_lshl_add_u64 v[12:13], v[12:13], 0, v[2:3]
	s_nop 0
	v_subb_co_u32_e32 v17, vcc, v17, v11, vcc
	v_lshl_add_u64 v[16:17], v[16:17], 0, -2
	v_mad_u64_u32 v[18:19], s[2:3], v16, s14, v[12:13]
	v_mul_lo_u32 v16, v16, s15
	v_mul_lo_u32 v17, v17, s14
	v_add3_u32 v16, v17, v19, v16
	v_mul_lo_u32 v17, v2, s15
	v_mul_lo_u32 v19, v3, s14
	v_mad_u64_u32 v[2:3], s[2:3], v2, s14, v[10:11]
	v_add3_u32 v3, v19, v3, v17
	v_mul_lo_u32 v4, s17, v10
	v_mul_lo_u32 v5, s16, v11
	;; [unrolled: 1-line block ×4, first 2 shown]
	v_mad_u64_u32 v[2:3], s[2:3], v2, s16, 0
	v_add3_u32 v3, v3, v11, v10
	v_mul_lo_u32 v13, v13, s16
	v_mul_lo_u32 v17, v12, s17
	v_mad_u64_u32 v[10:11], s[2:3], v12, s16, 0
	v_add3_u32 v1, v1, v5, v4
	v_add3_u32 v11, v11, v17, v13
	v_mul_lo_u32 v17, s17, v18
	v_mul_lo_u32 v16, s16, v16
	v_mad_u64_u32 v[12:13], s[2:3], s16, v18, 0
	v_lshl_add_u64 v[0:1], v[0:1], 2, s[8:9]
	v_lshlrev_b64 v[6:7], 2, v[6:7]
	s_ashr_i32 s1, s0, 31
	v_add3_u32 v13, v13, v16, v17
	v_lshl_add_u64 v[4:5], s[16:17], 2, v[0:1]
	v_lshl_add_u64 v[8:9], v[0:1], 0, v[6:7]
	;; [unrolled: 1-line block ×5, first 2 shown]
	s_lshl_b64 s[2:3], s[0:1], 2
	s_mov_b64 s[4:5], 0
.LBB29_3:                               ; =>This Inner Loop Header: Depth=1
	v_lshl_add_u64 v[18:19], v[0:1], 0, v[6:7]
	v_lshl_add_u64 v[16:17], v[10:11], 0, v[6:7]
	global_load_dword v20, v[18:19], off
	global_load_dword v21, v[16:17], off
	v_lshl_add_u64 v[8:9], s[0:1], 2, v[8:9]
	v_cmp_ge_u64_e32 vcc, v[8:9], v[4:5]
	s_or_b64 s[4:5], vcc, s[4:5]
	v_lshl_add_u64 v[18:19], v[2:3], 0, v[6:7]
	v_lshl_add_u64 v[16:17], v[12:13], 0, v[6:7]
	;; [unrolled: 1-line block ×3, first 2 shown]
	s_waitcnt vmcnt(0)
	v_sub_f32_e32 v20, v20, v21
	v_cmp_lt_f32_e32 vcc, 0, v20
	v_cmp_eq_f32_e64 s[6:7], |v20|, v15
	s_nop 0
	v_cndmask_b32_e64 v21, 0, 1, vcc
	v_cmp_gt_f32_e32 vcc, 0, v20
	v_cndmask_b32_e64 v20, 0, 1.0, s[6:7]
	s_nop 0
	v_subbrev_co_u32_e32 v21, vcc, 0, v21, vcc
	v_cvt_f32_i32_e32 v21, v21
	v_mul_f32_e32 v21, v14, v21
	v_mul_f32_e32 v20, v21, v20
	global_store_dword v[18:19], v20, off
	v_xor_b32_e32 v18, 0x80000000, v20
	global_store_dword v[16:17], v18, off
	s_andn2_b64 exec, exec, s[4:5]
	s_cbranch_execnz .LBB29_3
.LBB29_4:
	s_endpgm
	.section	.rodata,"a",@progbits
	.p2align	6, 0x0
	.amdhsa_kernel _ZN2at6native12_GLOBAL__N_131pdist_backward_kernel_cuda_implIfNS1_5distsIfE3infEEEvPT_PKS6_S9_S9_llllS6_dd
		.amdhsa_group_segment_fixed_size 0
		.amdhsa_private_segment_fixed_size 0
		.amdhsa_kernarg_size 344
		.amdhsa_user_sgpr_count 2
		.amdhsa_user_sgpr_dispatch_ptr 0
		.amdhsa_user_sgpr_queue_ptr 0
		.amdhsa_user_sgpr_kernarg_segment_ptr 1
		.amdhsa_user_sgpr_dispatch_id 0
		.amdhsa_user_sgpr_kernarg_preload_length 0
		.amdhsa_user_sgpr_kernarg_preload_offset 0
		.amdhsa_user_sgpr_private_segment_size 0
		.amdhsa_uses_dynamic_stack 0
		.amdhsa_enable_private_segment 0
		.amdhsa_system_sgpr_workgroup_id_x 1
		.amdhsa_system_sgpr_workgroup_id_y 1
		.amdhsa_system_sgpr_workgroup_id_z 0
		.amdhsa_system_sgpr_workgroup_info 0
		.amdhsa_system_vgpr_workitem_id 1
		.amdhsa_next_free_vgpr 22
		.amdhsa_next_free_sgpr 26
		.amdhsa_accum_offset 24
		.amdhsa_reserve_vcc 1
		.amdhsa_float_round_mode_32 0
		.amdhsa_float_round_mode_16_64 0
		.amdhsa_float_denorm_mode_32 3
		.amdhsa_float_denorm_mode_16_64 3
		.amdhsa_dx10_clamp 1
		.amdhsa_ieee_mode 1
		.amdhsa_fp16_overflow 0
		.amdhsa_tg_split 0
		.amdhsa_exception_fp_ieee_invalid_op 0
		.amdhsa_exception_fp_denorm_src 0
		.amdhsa_exception_fp_ieee_div_zero 0
		.amdhsa_exception_fp_ieee_overflow 0
		.amdhsa_exception_fp_ieee_underflow 0
		.amdhsa_exception_fp_ieee_inexact 0
		.amdhsa_exception_int_div_zero 0
	.end_amdhsa_kernel
	.section	.text._ZN2at6native12_GLOBAL__N_131pdist_backward_kernel_cuda_implIfNS1_5distsIfE3infEEEvPT_PKS6_S9_S9_llllS6_dd,"axG",@progbits,_ZN2at6native12_GLOBAL__N_131pdist_backward_kernel_cuda_implIfNS1_5distsIfE3infEEEvPT_PKS6_S9_S9_llllS6_dd,comdat
.Lfunc_end29:
	.size	_ZN2at6native12_GLOBAL__N_131pdist_backward_kernel_cuda_implIfNS1_5distsIfE3infEEEvPT_PKS6_S9_S9_llllS6_dd, .Lfunc_end29-_ZN2at6native12_GLOBAL__N_131pdist_backward_kernel_cuda_implIfNS1_5distsIfE3infEEEvPT_PKS6_S9_S9_llllS6_dd
                                        ; -- End function
	.set _ZN2at6native12_GLOBAL__N_131pdist_backward_kernel_cuda_implIfNS1_5distsIfE3infEEEvPT_PKS6_S9_S9_llllS6_dd.num_vgpr, 22
	.set _ZN2at6native12_GLOBAL__N_131pdist_backward_kernel_cuda_implIfNS1_5distsIfE3infEEEvPT_PKS6_S9_S9_llllS6_dd.num_agpr, 0
	.set _ZN2at6native12_GLOBAL__N_131pdist_backward_kernel_cuda_implIfNS1_5distsIfE3infEEEvPT_PKS6_S9_S9_llllS6_dd.numbered_sgpr, 26
	.set _ZN2at6native12_GLOBAL__N_131pdist_backward_kernel_cuda_implIfNS1_5distsIfE3infEEEvPT_PKS6_S9_S9_llllS6_dd.num_named_barrier, 0
	.set _ZN2at6native12_GLOBAL__N_131pdist_backward_kernel_cuda_implIfNS1_5distsIfE3infEEEvPT_PKS6_S9_S9_llllS6_dd.private_seg_size, 0
	.set _ZN2at6native12_GLOBAL__N_131pdist_backward_kernel_cuda_implIfNS1_5distsIfE3infEEEvPT_PKS6_S9_S9_llllS6_dd.uses_vcc, 1
	.set _ZN2at6native12_GLOBAL__N_131pdist_backward_kernel_cuda_implIfNS1_5distsIfE3infEEEvPT_PKS6_S9_S9_llllS6_dd.uses_flat_scratch, 0
	.set _ZN2at6native12_GLOBAL__N_131pdist_backward_kernel_cuda_implIfNS1_5distsIfE3infEEEvPT_PKS6_S9_S9_llllS6_dd.has_dyn_sized_stack, 0
	.set _ZN2at6native12_GLOBAL__N_131pdist_backward_kernel_cuda_implIfNS1_5distsIfE3infEEEvPT_PKS6_S9_S9_llllS6_dd.has_recursion, 0
	.set _ZN2at6native12_GLOBAL__N_131pdist_backward_kernel_cuda_implIfNS1_5distsIfE3infEEEvPT_PKS6_S9_S9_llllS6_dd.has_indirect_call, 0
	.section	.AMDGPU.csdata,"",@progbits
; Kernel info:
; codeLenInByte = 1024
; TotalNumSgprs: 32
; NumVgprs: 22
; NumAgprs: 0
; TotalNumVgprs: 22
; ScratchSize: 0
; MemoryBound: 0
; FloatMode: 240
; IeeeMode: 1
; LDSByteSize: 0 bytes/workgroup (compile time only)
; SGPRBlocks: 3
; VGPRBlocks: 2
; NumSGPRsForWavesPerEU: 32
; NumVGPRsForWavesPerEU: 22
; AccumOffset: 24
; Occupancy: 8
; WaveLimiterHint : 0
; COMPUTE_PGM_RSRC2:SCRATCH_EN: 0
; COMPUTE_PGM_RSRC2:USER_SGPR: 2
; COMPUTE_PGM_RSRC2:TRAP_HANDLER: 0
; COMPUTE_PGM_RSRC2:TGID_X_EN: 1
; COMPUTE_PGM_RSRC2:TGID_Y_EN: 1
; COMPUTE_PGM_RSRC2:TGID_Z_EN: 0
; COMPUTE_PGM_RSRC2:TIDIG_COMP_CNT: 1
; COMPUTE_PGM_RSRC3_GFX90A:ACCUM_OFFSET: 5
; COMPUTE_PGM_RSRC3_GFX90A:TG_SPLIT: 0
	.section	.text._ZN2at6native12_GLOBAL__N_131cdist_backward_kernel_cuda_implIdNS1_5distsIdE1pEEEvPT_PKS6_S9_S9_S9_S6_lllllll,"axG",@progbits,_ZN2at6native12_GLOBAL__N_131cdist_backward_kernel_cuda_implIdNS1_5distsIdE1pEEEvPT_PKS6_S9_S9_S9_S6_lllllll,comdat
	.globl	_ZN2at6native12_GLOBAL__N_131cdist_backward_kernel_cuda_implIdNS1_5distsIdE1pEEEvPT_PKS6_S9_S9_S9_S6_lllllll ; -- Begin function _ZN2at6native12_GLOBAL__N_131cdist_backward_kernel_cuda_implIdNS1_5distsIdE1pEEEvPT_PKS6_S9_S9_S9_S6_lllllll
	.p2align	8
	.type	_ZN2at6native12_GLOBAL__N_131cdist_backward_kernel_cuda_implIdNS1_5distsIdE1pEEEvPT_PKS6_S9_S9_S9_S6_lllllll,@function
_ZN2at6native12_GLOBAL__N_131cdist_backward_kernel_cuda_implIdNS1_5distsIdE1pEEEvPT_PKS6_S9_S9_S9_S6_lllllll: ; @_ZN2at6native12_GLOBAL__N_131cdist_backward_kernel_cuda_implIdNS1_5distsIdE1pEEEvPT_PKS6_S9_S9_S9_S6_lllllll
; %bb.0:
	s_load_dwordx2 s[6:7], s[0:1], 0x70
	s_load_dwordx8 s[20:27], s[0:1], 0x40
	s_add_u32 s28, s0, 0x68
	s_addc_u32 s29, s1, 0
	v_bfe_u32 v1, v0, 10, 10
	s_waitcnt lgkmcnt(0)
	s_mul_i32 s3, s6, s3
	s_add_i32 s3, s3, s4
	s_lshr_b32 s4, s7, 16
	s_mul_i32 s3, s3, s4
	v_add_u32_e32 v2, s3, v1
	v_ashrrev_i32_e32 v3, 31, v2
	v_cmp_gt_i64_e32 vcc, s[22:23], v[2:3]
	s_and_saveexec_b64 s[4:5], vcc
	s_cbranch_execz .LBB30_14
; %bb.1:
	s_load_dwordx2 s[22:23], s[0:1], 0x60
	s_and_b32 s33, s7, 0xffff
	s_mul_i32 s2, s2, s33
	v_and_b32_e32 v0, 0x3ff, v0
	v_add_u32_e32 v22, s2, v0
	v_ashrrev_i32_e32 v23, 31, v22
	v_cmp_gt_i64_e32 vcc, s[20:21], v[22:23]
	s_and_b64 exec, exec, vcc
	s_cbranch_execz .LBB30_14
; %bb.2:
	v_or_b32_e32 v5, s25, v3
	v_mov_b32_e32 v4, 0
	v_cmp_ne_u64_e32 vcc, 0, v[4:5]
                                        ; implicit-def: $vgpr0_vgpr1
	s_and_saveexec_b64 s[2:3], vcc
	s_xor_b64 s[4:5], exec, s[2:3]
	s_cbranch_execz .LBB30_4
; %bb.3:
	s_ashr_i32 s6, s25, 31
	s_add_u32 s2, s24, s6
	s_mov_b32 s7, s6
	s_addc_u32 s3, s25, s6
	s_xor_b64 s[8:9], s[2:3], s[6:7]
	v_cvt_f32_u32_e32 v0, s8
	v_cvt_f32_u32_e32 v1, s9
	s_sub_u32 s7, 0, s8
	s_subb_u32 s10, 0, s9
	v_mov_b32_e32 v9, v4
	v_fmamk_f32 v0, v1, 0x4f800000, v0
	v_rcp_f32_e32 v0, v0
	s_nop 0
	v_mul_f32_e32 v0, 0x5f7ffffc, v0
	v_mul_f32_e32 v1, 0x2f800000, v0
	v_trunc_f32_e32 v1, v1
	v_fmamk_f32 v0, v1, 0xcf800000, v0
	v_cvt_u32_f32_e32 v1, v1
	v_cvt_u32_f32_e32 v0, v0
	v_readfirstlane_b32 s11, v1
	v_readfirstlane_b32 s2, v0
	s_mul_i32 s3, s7, s11
	s_mul_hi_u32 s13, s7, s2
	s_mul_i32 s12, s10, s2
	s_add_i32 s3, s13, s3
	s_add_i32 s3, s3, s12
	s_mul_i32 s14, s7, s2
	s_mul_i32 s13, s2, s3
	s_mul_hi_u32 s15, s2, s14
	s_mul_hi_u32 s12, s2, s3
	s_add_u32 s13, s15, s13
	s_addc_u32 s12, 0, s12
	s_mul_hi_u32 s16, s11, s14
	s_mul_i32 s14, s11, s14
	s_add_u32 s13, s13, s14
	s_mul_hi_u32 s15, s11, s3
	s_addc_u32 s12, s12, s16
	s_addc_u32 s13, s15, 0
	s_mul_i32 s3, s11, s3
	s_add_u32 s3, s12, s3
	s_addc_u32 s12, 0, s13
	s_add_u32 s13, s2, s3
	s_cselect_b64 s[2:3], -1, 0
	s_cmp_lg_u64 s[2:3], 0
	s_addc_u32 s11, s11, s12
	s_mul_i32 s2, s7, s11
	s_mul_hi_u32 s3, s7, s13
	s_add_i32 s2, s3, s2
	s_mul_i32 s10, s10, s13
	s_add_i32 s2, s2, s10
	s_mul_i32 s7, s7, s13
	s_mul_hi_u32 s10, s11, s7
	s_mul_i32 s12, s11, s7
	s_mul_i32 s15, s13, s2
	s_mul_hi_u32 s7, s13, s7
	s_mul_hi_u32 s14, s13, s2
	s_add_u32 s7, s7, s15
	s_addc_u32 s14, 0, s14
	s_add_u32 s7, s7, s12
	s_mul_hi_u32 s3, s11, s2
	s_addc_u32 s7, s14, s10
	s_addc_u32 s3, s3, 0
	s_mul_i32 s2, s11, s2
	s_add_u32 s2, s7, s2
	s_addc_u32 s7, 0, s3
	s_add_u32 s10, s13, s2
	v_ashrrev_i32_e32 v0, 31, v3
	s_cselect_b64 s[2:3], -1, 0
	v_mov_b32_e32 v1, v0
	s_cmp_lg_u64 s[2:3], 0
	v_lshl_add_u64 v[6:7], v[2:3], 0, v[0:1]
	s_addc_u32 s7, s11, s7
	v_xor_b32_e32 v12, v6, v0
	v_xor_b32_e32 v1, v7, v0
	v_mad_u64_u32 v[6:7], s[2:3], v12, s7, 0
	v_mul_hi_u32 v8, v12, s10
	v_lshl_add_u64 v[6:7], v[8:9], 0, v[6:7]
	v_mad_u64_u32 v[10:11], s[2:3], v1, s10, 0
	v_add_co_u32_e32 v5, vcc, v6, v10
	v_mad_u64_u32 v[8:9], s[2:3], v1, s7, 0
	s_nop 0
	v_addc_co_u32_e32 v6, vcc, v7, v11, vcc
	v_mov_b32_e32 v7, v4
	s_nop 0
	v_addc_co_u32_e32 v9, vcc, 0, v9, vcc
	v_lshl_add_u64 v[4:5], v[6:7], 0, v[8:9]
	v_mul_lo_u32 v8, s9, v4
	v_mul_lo_u32 v9, s8, v5
	v_mad_u64_u32 v[6:7], s[2:3], s8, v4, 0
	v_add3_u32 v10, v7, v9, v8
	v_sub_u32_e32 v7, v1, v10
	v_mov_b32_e32 v8, s9
	v_sub_co_u32_e32 v11, vcc, v12, v6
	s_nop 1
	v_subb_co_u32_e64 v6, s[2:3], v7, v8, vcc
	v_subrev_co_u32_e64 v7, s[2:3], s8, v11
	v_subb_co_u32_e32 v1, vcc, v1, v10, vcc
	s_nop 0
	v_subbrev_co_u32_e64 v6, s[2:3], 0, v6, s[2:3]
	v_cmp_le_u32_e64 s[2:3], s9, v6
	v_cmp_le_u32_e32 vcc, s9, v1
	s_nop 0
	v_cndmask_b32_e64 v8, 0, -1, s[2:3]
	v_cmp_le_u32_e64 s[2:3], s8, v7
	s_nop 1
	v_cndmask_b32_e64 v7, 0, -1, s[2:3]
	v_cmp_eq_u32_e64 s[2:3], s9, v6
	s_nop 1
	v_cndmask_b32_e64 v12, v8, v7, s[2:3]
	v_lshl_add_u64 v[6:7], v[4:5], 0, 2
	v_lshl_add_u64 v[8:9], v[4:5], 0, 1
	v_cmp_ne_u32_e64 s[2:3], 0, v12
	s_nop 1
	v_cndmask_b32_e64 v7, v9, v7, s[2:3]
	v_cndmask_b32_e64 v9, 0, -1, vcc
	v_cmp_le_u32_e32 vcc, s8, v11
	s_nop 1
	v_cndmask_b32_e64 v10, 0, -1, vcc
	v_cmp_eq_u32_e32 vcc, s9, v1
	s_nop 1
	v_cndmask_b32_e32 v1, v9, v10, vcc
	v_cmp_ne_u32_e32 vcc, 0, v1
	s_nop 1
	v_cndmask_b32_e32 v1, v5, v7, vcc
	v_cndmask_b32_e64 v5, v8, v6, s[2:3]
	v_cndmask_b32_e32 v4, v4, v5, vcc
	v_xor_b32_e32 v5, s6, v0
	v_xor_b32_e32 v0, v4, v5
	;; [unrolled: 1-line block ×3, first 2 shown]
	v_sub_co_u32_e32 v0, vcc, v0, v5
	s_nop 1
	v_subb_co_u32_e32 v1, vcc, v1, v5, vcc
.LBB30_4:
	s_andn2_saveexec_b64 s[2:3], s[4:5]
	s_cbranch_execz .LBB30_6
; %bb.5:
	v_cvt_f32_u32_e32 v0, s24
	s_sub_i32 s4, 0, s24
	v_rcp_iflag_f32_e32 v0, v0
	s_nop 0
	v_mul_f32_e32 v0, 0x4f7ffffe, v0
	v_cvt_u32_f32_e32 v0, v0
	v_mul_lo_u32 v1, s4, v0
	v_mul_hi_u32 v1, v0, v1
	v_add_u32_e32 v0, v0, v1
	v_mul_hi_u32 v0, v2, v0
	v_mul_lo_u32 v1, v0, s24
	v_sub_u32_e32 v1, v2, v1
	v_add_u32_e32 v4, 1, v0
	v_subrev_u32_e32 v5, s24, v1
	v_cmp_le_u32_e32 vcc, s24, v1
	s_nop 1
	v_cndmask_b32_e32 v1, v1, v5, vcc
	v_cndmask_b32_e32 v0, v0, v4, vcc
	v_add_u32_e32 v4, 1, v0
	v_cmp_le_u32_e32 vcc, s24, v1
	v_mov_b32_e32 v1, 0
	s_nop 0
	v_cndmask_b32_e32 v0, v0, v4, vcc
.LBB30_6:
	s_or_b64 exec, exec, s[2:3]
	s_load_dwordx16 s[4:19], s[0:1], 0x0
	v_mul_lo_u32 v1, v1, s24
	v_mul_lo_u32 v6, v0, s25
	v_mad_u64_u32 v[4:5], s[0:1], v0, s24, 0
	v_add3_u32 v1, v5, v6, v1
	v_sub_co_u32_e32 v6, vcc, v2, v4
	v_mov_b32_e32 v10, 0
	s_nop 0
	v_subb_co_u32_e32 v7, vcc, v3, v1, vcc
	s_waitcnt lgkmcnt(0)
	v_or_b32_e32 v11, s19, v7
	v_cmp_ne_u64_e32 vcc, 0, v[10:11]
                                        ; implicit-def: $vgpr8_vgpr9
	s_and_saveexec_b64 s[0:1], vcc
	s_xor_b64 s[2:3], exec, s[0:1]
	s_cbranch_execz .LBB30_8
; %bb.7:
	s_ashr_i32 s24, s19, 31
	s_add_u32 s0, s18, s24
	s_mov_b32 s25, s24
	s_addc_u32 s1, s19, s24
	s_xor_b64 s[30:31], s[0:1], s[24:25]
	v_cvt_f32_u32_e32 v1, s30
	v_cvt_f32_u32_e32 v5, s31
	s_sub_u32 s25, 0, s30
	s_subb_u32 s34, 0, s31
	v_ashrrev_i32_e32 v8, 31, v7
	v_fmamk_f32 v1, v5, 0x4f800000, v1
	v_rcp_f32_e32 v1, v1
	v_mov_b32_e32 v9, v8
	v_lshl_add_u64 v[12:13], v[6:7], 0, v[8:9]
	v_mov_b32_e32 v15, v10
	v_mul_f32_e32 v1, 0x5f7ffffc, v1
	v_mul_f32_e32 v5, 0x2f800000, v1
	v_trunc_f32_e32 v5, v5
	v_fmamk_f32 v1, v5, 0xcf800000, v1
	v_cvt_u32_f32_e32 v5, v5
	v_cvt_u32_f32_e32 v1, v1
	v_readfirstlane_b32 s35, v5
	v_readfirstlane_b32 s0, v1
	s_mul_i32 s1, s25, s35
	s_mul_hi_u32 s37, s25, s0
	s_mul_i32 s36, s34, s0
	s_add_i32 s1, s37, s1
	s_add_i32 s1, s1, s36
	s_mul_i32 s38, s25, s0
	s_mul_i32 s37, s0, s1
	s_mul_hi_u32 s39, s0, s38
	s_mul_hi_u32 s36, s0, s1
	s_add_u32 s37, s39, s37
	s_addc_u32 s36, 0, s36
	s_mul_hi_u32 s40, s35, s38
	s_mul_i32 s38, s35, s38
	s_add_u32 s37, s37, s38
	s_mul_hi_u32 s39, s35, s1
	s_addc_u32 s36, s36, s40
	s_addc_u32 s37, s39, 0
	s_mul_i32 s1, s35, s1
	s_add_u32 s1, s36, s1
	s_addc_u32 s36, 0, s37
	s_add_u32 s37, s0, s1
	s_cselect_b64 s[0:1], -1, 0
	s_cmp_lg_u64 s[0:1], 0
	s_addc_u32 s35, s35, s36
	s_mul_i32 s0, s25, s35
	s_mul_hi_u32 s1, s25, s37
	s_add_i32 s0, s1, s0
	s_mul_i32 s34, s34, s37
	s_add_i32 s0, s0, s34
	s_mul_i32 s25, s25, s37
	s_mul_hi_u32 s34, s35, s25
	s_mul_i32 s36, s35, s25
	s_mul_i32 s39, s37, s0
	s_mul_hi_u32 s25, s37, s25
	s_mul_hi_u32 s38, s37, s0
	s_add_u32 s25, s25, s39
	s_addc_u32 s38, 0, s38
	s_add_u32 s25, s25, s36
	s_mul_hi_u32 s1, s35, s0
	s_addc_u32 s25, s38, s34
	s_addc_u32 s1, s1, 0
	s_mul_i32 s0, s35, s0
	s_add_u32 s0, s25, s0
	s_addc_u32 s25, 0, s1
	s_add_u32 s34, s37, s0
	s_cselect_b64 s[0:1], -1, 0
	s_cmp_lg_u64 s[0:1], 0
	s_addc_u32 s25, s35, s25
	v_xor_b32_e32 v5, v12, v8
	v_xor_b32_e32 v1, v13, v8
	v_mad_u64_u32 v[12:13], s[0:1], v5, s25, 0
	v_mul_hi_u32 v14, v5, s34
	v_lshl_add_u64 v[12:13], v[14:15], 0, v[12:13]
	v_mad_u64_u32 v[16:17], s[0:1], v1, s34, 0
	v_add_co_u32_e32 v9, vcc, v12, v16
	v_mad_u64_u32 v[14:15], s[0:1], v1, s25, 0
	s_nop 0
	v_addc_co_u32_e32 v12, vcc, v13, v17, vcc
	v_mov_b32_e32 v13, v10
	s_nop 0
	v_addc_co_u32_e32 v15, vcc, 0, v15, vcc
	v_lshl_add_u64 v[10:11], v[12:13], 0, v[14:15]
	v_mul_lo_u32 v9, s31, v10
	v_mul_lo_u32 v14, s30, v11
	v_mad_u64_u32 v[12:13], s[0:1], s30, v10, 0
	v_add3_u32 v9, v13, v14, v9
	v_sub_u32_e32 v13, v1, v9
	v_mov_b32_e32 v14, s31
	v_sub_co_u32_e32 v5, vcc, v5, v12
	s_nop 1
	v_subb_co_u32_e64 v12, s[0:1], v13, v14, vcc
	v_subrev_co_u32_e64 v13, s[0:1], s30, v5
	v_subb_co_u32_e32 v1, vcc, v1, v9, vcc
	s_nop 0
	v_subbrev_co_u32_e64 v12, s[0:1], 0, v12, s[0:1]
	v_cmp_le_u32_e64 s[0:1], s31, v12
	v_cmp_le_u32_e32 vcc, s31, v1
	s_nop 0
	v_cndmask_b32_e64 v14, 0, -1, s[0:1]
	v_cmp_le_u32_e64 s[0:1], s30, v13
	v_cndmask_b32_e64 v9, 0, -1, vcc
	v_cmp_le_u32_e32 vcc, s30, v5
	v_cndmask_b32_e64 v13, 0, -1, s[0:1]
	v_cmp_eq_u32_e64 s[0:1], s31, v12
	v_cndmask_b32_e64 v5, 0, -1, vcc
	v_cmp_eq_u32_e32 vcc, s31, v1
	v_cndmask_b32_e64 v16, v14, v13, s[0:1]
	v_lshl_add_u64 v[12:13], v[10:11], 0, 2
	v_lshl_add_u64 v[14:15], v[10:11], 0, 1
	v_cmp_ne_u32_e64 s[0:1], 0, v16
	v_cndmask_b32_e32 v1, v9, v5, vcc
	v_cmp_ne_u32_e32 vcc, 0, v1
	v_cndmask_b32_e64 v5, v14, v12, s[0:1]
	v_cndmask_b32_e64 v13, v15, v13, s[0:1]
	v_cndmask_b32_e32 v5, v10, v5, vcc
	v_xor_b32_e32 v9, s24, v8
	v_cndmask_b32_e32 v1, v11, v13, vcc
	v_xor_b32_e32 v5, v5, v9
	v_xor_b32_e32 v1, v1, v9
	v_sub_co_u32_e32 v8, vcc, v5, v9
	s_nop 1
	v_subb_co_u32_e32 v9, vcc, v1, v9, vcc
.LBB30_8:
	s_or_saveexec_b64 s[0:1], s[2:3]
	s_load_dword s2, s[28:29], 0x0
	s_xor_b64 exec, exec, s[0:1]
	s_cbranch_execz .LBB30_10
; %bb.9:
	v_cvt_f32_u32_e32 v1, s18
	s_sub_i32 s3, 0, s18
	v_rcp_iflag_f32_e32 v1, v1
	s_nop 0
	v_mul_f32_e32 v1, 0x4f7ffffe, v1
	v_cvt_u32_f32_e32 v1, v1
	v_mul_lo_u32 v5, s3, v1
	v_mul_hi_u32 v5, v1, v5
	v_add_u32_e32 v1, v1, v5
	v_mul_hi_u32 v1, v6, v1
	v_mul_lo_u32 v5, v1, s18
	v_sub_u32_e32 v5, v6, v5
	v_add_u32_e32 v8, 1, v1
	v_subrev_u32_e32 v9, s18, v5
	v_cmp_le_u32_e32 vcc, s18, v5
	s_nop 1
	v_cndmask_b32_e32 v5, v5, v9, vcc
	v_cndmask_b32_e32 v1, v1, v8, vcc
	v_add_u32_e32 v8, 1, v1
	v_cmp_le_u32_e32 vcc, s18, v5
	v_mov_b32_e32 v9, 0
	s_nop 0
	v_cndmask_b32_e32 v8, v1, v8, vcc
.LBB30_10:
	s_or_b64 exec, exec, s[0:1]
	v_lshlrev_b64 v[34:35], 3, v[2:3]
	v_lshl_add_u64 v[2:3], s[12:13], 0, v[34:35]
	global_load_dwordx2 v[12:13], v[2:3], off
	v_ashrrev_i32_e32 v5, 31, v0
	v_mul_lo_u32 v32, v9, s18
	v_mul_lo_u32 v33, v8, s19
	v_mad_u64_u32 v[24:25], s[0:1], v8, s18, 0
	v_mul_lo_u32 v36, v0, s27
	v_mad_u64_u32 v[16:17], s[0:1], v0, s26, 0
	v_mul_lo_u32 v38, v5, s26
	v_add3_u32 v25, v25, v33, v32
	v_sub_co_u32_e32 v6, vcc, v6, v24
	v_add3_u32 v17, v17, v36, v38
	s_nop 0
	v_subb_co_u32_e32 v36, vcc, v7, v25, vcc
	v_add_f64 v[28:29], s[14:15], -1.0
	v_mov_b32_e32 v66, 0x3ff00000
	v_mov_b32_e32 v10, s8
	;; [unrolled: 1-line block ×3, first 2 shown]
	v_mul_lo_u32 v30, v9, s20
	v_mul_lo_u32 v31, v8, s21
	v_mad_u64_u32 v[18:19], s[0:1], v8, s20, 0
	v_mul_lo_u32 v37, v0, s23
	v_mad_u64_u32 v[26:27], s[0:1], v0, s22, 0
	v_mul_lo_u32 v5, v5, s22
	v_mad_u64_u32 v[8:9], s[0:1], v6, s16, v[8:9]
	s_mov_b32 s8, 0x55555555
	v_mul_lo_u32 v38, v6, s17
	v_add3_u32 v27, v27, v37, v5
	v_mul_lo_u32 v5, v6, s21
	v_mad_u64_u32 v[24:25], s[0:1], v6, s20, 0
	v_lshl_add_u64 v[6:7], v[16:17], 3, v[10:11]
	v_mad_u64_u32 v[10:11], s[0:1], v8, s20, 0
	v_mov_b32_e32 v14, s10
	v_mov_b32_e32 v15, s11
	s_mov_b32 s9, 0x3fe55555
	v_mul_lo_u32 v16, v36, s16
	v_mul_lo_u32 v17, v8, s21
	v_mul_lo_u32 v8, v36, s20
	v_lshl_add_u64 v[14:15], v[26:27], 3, v[14:15]
	v_add3_u32 v9, v16, v9, v38
	v_add3_u32 v25, v25, v5, v8
	v_mul_lo_u32 v5, v9, s20
	v_lshl_add_u64 v[8:9], v[24:25], 3, v[14:15]
	v_mul_lo_u32 v21, s20, v4
	v_mov_b32_e32 v20, 0
	v_add3_u32 v11, v11, v17, v5
	v_ashrrev_i64 v[20:21], 29, v[20:21]
	v_lshl_add_u64 v[20:21], s[4:5], 0, v[20:21]
	v_add3_u32 v19, v19, v31, v30
	v_lshl_add_u64 v[10:11], v[10:11], 3, v[20:21]
	v_lshl_add_u64 v[6:7], v[18:19], 3, v[6:7]
	v_mov_b32_e32 v0, 0x968915a9
	v_mov_b32_e32 v1, 0x3fba6564
	s_mov_b32 s10, 0x4222de17
	s_mov_b32 s11, 0x3fbdee67
	v_mov_b32_e32 v2, 0x3abe935a
	v_mov_b32_e32 v3, 0x3fbe25e4
	v_mov_b64_e32 v[30:31], v[0:1]
	v_mov_b32_e32 v4, 0x47e6c9c2
	v_mov_b64_e32 v[32:33], v[2:3]
	s_mov_b32 s12, 0xfefa39ef
	s_mov_b32 s13, 0x3fe62e42
	;; [unrolled: 1-line block ×4, first 2 shown]
	v_lshl_add_u64 v[34:35], s[6:7], 0, v[34:35]
	global_load_dwordx2 v[34:35], v[34:35], off
	s_mov_b32 s19, 0xbfe55555
	s_mov_b32 s18, s8
	;; [unrolled: 1-line block ×4, first 2 shown]
	s_movk_i32 s42, 0x204
	s_mov_b32 s26, 0x652b82fe
	s_mov_b32 s27, 0x3ff71547
	s_waitcnt vmcnt(1)
	v_cmp_neq_f64_e32 vcc, 1.0, v[12:13]
	v_cmp_neq_f64_e64 s[0:1], 0, v[12:13]
	s_mov_b32 s24, 0
	v_cndmask_b32_e32 v51, v66, v29, vcc
	v_cndmask_b32_e32 v50, 0, v28, vcc
	v_cmp_neq_f64_e32 vcc, 0, v[50:51]
	s_mov_b32 s25, 0x7ff00000
	s_mov_b32 s29, 0xbfe62e42
	v_cndmask_b32_e32 v53, v66, v13, vcc
	v_cndmask_b32_e32 v52, 0, v12, vcc
	v_frexp_mant_f64_e64 v[12:13], |v[52:53]|
	v_cmp_gt_f64_e32 vcc, s[8:9], v[12:13]
	v_frexp_exp_i32_f64_e32 v5, v[52:53]
	s_mov_b32 s28, s12
	v_cndmask_b32_e64 v14, 0, 1, vcc
	v_ldexp_f64 v[12:13], v[12:13], v14
	v_add_f64 v[14:15], v[12:13], 1.0
	v_rcp_f64_e32 v[16:17], v[14:15]
	v_add_f64 v[20:21], v[14:15], -1.0
	v_add_f64 v[18:19], v[12:13], -1.0
	v_add_f64 v[12:13], v[12:13], -v[20:21]
	v_fma_f64 v[20:21], -v[14:15], v[16:17], 1.0
	v_fmac_f64_e32 v[16:17], v[20:21], v[16:17]
	v_fma_f64 v[20:21], -v[14:15], v[16:17], 1.0
	v_fmac_f64_e32 v[16:17], v[20:21], v[16:17]
	v_mul_f64 v[20:21], v[18:19], v[16:17]
	v_mul_f64 v[24:25], v[14:15], v[20:21]
	v_fma_f64 v[14:15], v[20:21], v[14:15], -v[24:25]
	v_fmac_f64_e32 v[14:15], v[20:21], v[12:13]
	v_add_f64 v[12:13], v[24:25], v[14:15]
	v_add_f64 v[26:27], v[18:19], -v[12:13]
	v_add_f64 v[24:25], v[12:13], -v[24:25]
	v_add_f64 v[18:19], v[18:19], -v[26:27]
	v_add_f64 v[14:15], v[24:25], -v[14:15]
	v_add_f64 v[12:13], v[18:19], -v[12:13]
	v_add_f64 v[12:13], v[14:15], v[12:13]
	v_add_f64 v[12:13], v[26:27], v[12:13]
	v_mul_f64 v[12:13], v[16:17], v[12:13]
	v_add_f64 v[24:25], v[20:21], v[12:13]
	v_add_f64 v[14:15], v[24:25], -v[20:21]
	v_mul_f64 v[16:17], v[24:25], v[24:25]
	v_add_f64 v[26:27], v[12:13], -v[14:15]
	v_fma_f64 v[12:13], v[24:25], v[24:25], -v[16:17]
	v_add_f64 v[14:15], v[26:27], v[26:27]
	v_fmac_f64_e32 v[12:13], v[24:25], v[14:15]
	v_add_f64 v[28:29], v[16:17], v[12:13]
	v_subbrev_co_u32_e32 v38, vcc, 0, v5, vcc
	v_add_f64 v[14:15], v[28:29], -v[16:17]
	v_fmac_f64_e32 v[30:31], s[10:11], v[28:29]
	v_mov_b32_e32 v5, 0x3fc110ef
	v_add_f64 v[36:37], v[12:13], -v[14:15]
	v_fmac_f64_e32 v[32:33], v[28:29], v[30:31]
	v_mov_b64_e32 v[14:15], v[4:5]
	v_mov_b32_e32 v12, 0xcfa74449
	v_mov_b32_e32 v13, 0x3fc3b13b
	v_fmac_f64_e32 v[14:15], v[28:29], v[32:33]
	v_mov_b64_e32 v[16:17], v[12:13]
	v_fmac_f64_e32 v[16:17], v[28:29], v[14:15]
	v_mov_b32_e32 v14, 0x71bf3c30
	v_mov_b32_e32 v15, 0x3fc745d1
	v_mov_b64_e32 v[18:19], v[14:15]
	v_fmac_f64_e32 v[18:19], v[28:29], v[16:17]
	v_mov_b32_e32 v16, 0x1c7792ce
	v_mov_b32_e32 v17, 0x3fcc71c7
	;; [unrolled: 4-line block ×4, first 2 shown]
	v_mov_b64_e32 v[32:33], v[20:21]
	v_fmac_f64_e32 v[32:33], v[28:29], v[30:31]
	v_cvt_f64_i32_e32 v[30:31], v38
	v_mul_f64 v[38:39], v[30:31], s[12:13]
	v_fma_f64 v[40:41], v[30:31], s[12:13], -v[38:39]
	v_mul_f64 v[44:45], v[24:25], v[28:29]
	v_fmac_f64_e32 v[40:41], s[16:17], v[30:31]
	v_fma_f64 v[46:47], v[28:29], v[24:25], -v[44:45]
	v_add_f64 v[30:31], v[38:39], v[40:41]
	v_fmac_f64_e32 v[46:47], v[28:29], v[26:27]
	v_add_f64 v[38:39], v[30:31], -v[38:39]
	v_fmac_f64_e32 v[46:47], v[36:37], v[24:25]
	v_add_f64 v[38:39], v[40:41], -v[38:39]
	v_ldexp_f64 v[40:41], v[24:25], 1
	v_add_f64 v[24:25], v[44:45], v[46:47]
	v_ldexp_f64 v[42:43], v[26:27], 1
	v_add_f64 v[26:27], v[24:25], -v[44:45]
	v_mul_f64 v[44:45], v[28:29], v[32:33]
	v_fma_f64 v[28:29], v[28:29], v[32:33], -v[44:45]
	v_fmac_f64_e32 v[28:29], v[36:37], v[32:33]
	v_add_f64 v[32:33], v[44:45], v[28:29]
	v_add_f64 v[36:37], v[32:33], -v[44:45]
	v_add_f64 v[28:29], v[28:29], -v[36:37]
	v_add_f64 v[36:37], v[32:33], s[8:9]
	v_add_f64 v[44:45], v[36:37], s[18:19]
	v_add_f64 v[32:33], v[32:33], -v[44:45]
	v_add_f64 v[28:29], v[28:29], s[22:23]
	v_add_f64 v[28:29], v[28:29], v[32:33]
	;; [unrolled: 1-line block ×3, first 2 shown]
	v_add_f64 v[36:37], v[36:37], -v[32:33]
	v_add_f64 v[28:29], v[28:29], v[36:37]
	v_mul_f64 v[36:37], v[24:25], v[32:33]
	v_fma_f64 v[44:45], v[24:25], v[32:33], -v[36:37]
	v_add_f64 v[26:27], v[46:47], -v[26:27]
	v_fmac_f64_e32 v[44:45], v[24:25], v[28:29]
	v_fmac_f64_e32 v[44:45], v[26:27], v[32:33]
	v_add_f64 v[24:25], v[36:37], v[44:45]
	v_add_f64 v[26:27], v[24:25], -v[36:37]
	v_add_f64 v[28:29], v[40:41], v[24:25]
	v_add_f64 v[26:27], v[44:45], -v[26:27]
	v_add_f64 v[32:33], v[28:29], -v[40:41]
	;; [unrolled: 1-line block ×3, first 2 shown]
	v_add_f64 v[26:27], v[42:43], v[26:27]
	v_add_f64 v[24:25], v[26:27], v[24:25]
	;; [unrolled: 1-line block ×3, first 2 shown]
	v_add_f64 v[28:29], v[26:27], -v[28:29]
	v_add_f64 v[24:25], v[24:25], -v[28:29]
	v_add_f64 v[28:29], v[30:31], v[26:27]
	v_add_f64 v[32:33], v[28:29], -v[30:31]
	v_add_f64 v[36:37], v[28:29], -v[32:33]
	v_add_f64 v[30:31], v[30:31], -v[36:37]
	v_add_f64 v[26:27], v[26:27], -v[32:33]
	v_add_f64 v[26:27], v[26:27], v[30:31]
	v_add_f64 v[30:31], v[38:39], v[24:25]
	v_add_f64 v[32:33], v[30:31], -v[38:39]
	v_add_f64 v[26:27], v[30:31], v[26:27]
	v_add_f64 v[36:37], v[30:31], -v[32:33]
	;; [unrolled: 2-line block ×3, first 2 shown]
	v_add_f64 v[24:25], v[24:25], -v[32:33]
	v_add_f64 v[28:29], v[30:31], -v[28:29]
	v_add_f64 v[24:25], v[24:25], v[36:37]
	v_add_f64 v[26:27], v[26:27], -v[28:29]
	v_add_f64 v[24:25], v[24:25], v[26:27]
	v_add_f64 v[26:27], v[30:31], v[24:25]
	v_add_f64 v[28:29], v[26:27], -v[30:31]
	v_add_f64 v[24:25], v[24:25], -v[28:29]
	v_mul_f64 v[28:29], v[50:51], v[26:27]
	v_fma_f64 v[26:27], v[50:51], v[26:27], -v[28:29]
	v_fmac_f64_e32 v[26:27], v[50:51], v[24:25]
	v_add_f64 v[24:25], v[28:29], v[26:27]
	v_cmp_class_f64_e64 vcc, v[28:29], s42
	v_add_f64 v[30:31], v[24:25], -v[28:29]
	v_add_f64 v[26:27], v[26:27], -v[30:31]
	v_cndmask_b32_e32 v49, v25, v29, vcc
	v_cndmask_b32_e32 v48, v24, v28, vcc
	v_mul_f64 v[24:25], v[48:49], s[26:27]
	v_rndne_f64_e32 v[46:47], v[24:25]
	v_cmp_neq_f64_e64 vcc, |v[48:49]|, s[24:25]
	v_fma_f64 v[44:45], s[28:29], v[46:47], v[48:49]
	s_mov_b32 s31, 0xbc7abc9e
	s_mov_b32 s30, s16
	v_mov_b32_e32 v24, 0xfca7ab0c
	v_mov_b32_e32 v25, 0x3e928af3
	s_mov_b32 s34, 0x6a5dcb37
	v_cndmask_b32_e32 v55, 0, v27, vcc
	v_cndmask_b32_e32 v54, 0, v26, vcc
	v_fmac_f64_e32 v[44:45], s[30:31], v[46:47]
	s_mov_b32 s35, 0x3e5ade15
	v_mov_b64_e32 v[28:29], v[24:25]
	v_mov_b32_e32 v26, 0x623fde64
	v_mov_b32_e32 v27, 0x3ec71dee
	v_fmac_f64_e32 v[28:29], s[34:35], v[44:45]
	v_mov_b64_e32 v[30:31], v[26:27]
	v_fmac_f64_e32 v[30:31], v[44:45], v[28:29]
	v_mov_b32_e32 v28, 0x7c89e6b0
	v_mov_b32_e32 v29, 0x3efa0199
	v_mov_b64_e32 v[32:33], v[28:29]
	v_fmac_f64_e32 v[32:33], v[44:45], v[30:31]
	v_mov_b32_e32 v30, 0x14761f6e
	v_mov_b32_e32 v31, 0x3f2a01a0
	v_mov_b64_e32 v[36:37], v[30:31]
	v_fmac_f64_e32 v[36:37], v[44:45], v[32:33]
	v_mov_b32_e32 v32, 0x1852b7b0
	v_mov_b32_e32 v33, 0x3f56c16c
	v_mov_b64_e32 v[38:39], v[32:33]
	v_fmac_f64_e32 v[38:39], v[44:45], v[36:37]
	v_mov_b32_e32 v36, 0x11122322
	v_mov_b32_e32 v37, 0x3f811111
	v_mov_b64_e32 v[40:41], v[36:37]
	v_fmac_f64_e32 v[40:41], v[44:45], v[38:39]
	v_mov_b32_e32 v38, 0x555502a1
	v_mov_b32_e32 v39, 0x3fa55555
	v_mov_b64_e32 v[42:43], v[38:39]
	v_fmac_f64_e32 v[42:43], v[44:45], v[40:41]
	v_mov_b32_e32 v40, 0x55555511
	v_mov_b32_e32 v41, 0x3fc55555
	v_mov_b64_e32 v[56:57], v[40:41]
	v_fmac_f64_e32 v[56:57], v[44:45], v[42:43]
	v_mov_b32_e32 v42, 11
	v_mov_b32_e32 v43, 0x3fe00000
	v_mov_b64_e32 v[58:59], v[42:43]
	v_fmac_f64_e32 v[58:59], v[44:45], v[56:57]
	v_fma_f64 v[56:57], v[44:45], v[58:59], 1.0
	v_fma_f64 v[56:57], v[44:45], v[56:57], 1.0
	v_lshl_add_u64 v[44:45], s[20:21], 3, v[6:7]
	s_mov_b32 s6, 0
	s_mov_b32 s20, 0
	v_cvt_i32_f64_e32 v46, v[46:47]
	s_mov_b32 s7, 0x40900000
	s_mov_b32 s21, 0xc090cc00
	v_ldexp_f64 v[56:57], v[56:57], v46
	v_mov_b32_e32 v67, 0x7ff00000
	v_cmp_nlt_f64_e32 vcc, s[6:7], v[48:49]
	s_waitcnt lgkmcnt(0)
	s_mul_i32 s36, s2, s33
	v_cmp_ngt_f64_e64 s[2:3], s[20:21], v[48:49]
	v_cndmask_b32_e32 v57, v67, v57, vcc
	s_and_b64 vcc, s[2:3], vcc
	v_cndmask_b32_e64 v49, 0, v57, s[2:3]
	v_cndmask_b32_e32 v48, 0, v56, vcc
	v_mov_b64_e32 v[56:57], v[48:49]
	v_fmac_f64_e32 v[56:57], v[56:57], v[54:55]
	v_cmp_class_f64_e64 vcc, v[48:49], s42
	s_brev_b32 s18, -2
	v_mov_b32_e32 v68, 0x7ff80000
	v_cndmask_b32_e32 v56, v56, v48, vcc
	v_cndmask_b32_e32 v57, v57, v49, vcc
	v_mul_f64 v[48:49], v[50:51], 0.5
	v_trunc_f64_e32 v[54:55], v[48:49]
	v_cmp_neq_f64_e32 vcc, v[54:55], v[48:49]
	v_trunc_f64_e32 v[48:49], v[50:51]
	v_cmp_eq_f64_e64 s[2:3], v[48:49], v[50:51]
	s_and_b64 vcc, s[2:3], vcc
	v_cndmask_b32_e32 v48, v66, v53, vcc
	v_bfi_b32 v48, s18, v57, v48
	v_cndmask_b32_e64 v49, v68, v48, s[2:3]
	v_cndmask_b32_e64 v54, 0, v56, s[2:3]
	v_cmp_gt_f64_e64 s[2:3], 0, v[52:53]
	v_cmp_lt_f64_e64 s[4:5], |v[52:53]|, 1.0
	v_lshlrev_b64 v[22:23], 3, v[22:23]
	v_cndmask_b32_e64 v54, v56, v54, s[2:3]
	v_cndmask_b32_e64 v48, v48, v49, s[2:3]
	v_cmp_neq_f64_e64 s[2:3], v[50:51], |v[50:51]|
	s_xor_b64 s[2:3], s[2:3], s[4:5]
	v_cmp_gt_f64_e64 s[4:5], 0, v[50:51]
	v_cndmask_b32_e64 v49, v67, 0, s[2:3]
	v_cmp_neq_f64_e64 s[2:3], |v[52:53]|, 1.0
	s_ashr_i32 s37, s36, 31
	v_lshl_add_u64 v[46:47], v[6:7], 0, v[22:23]
	v_cndmask_b32_e64 v49, v66, v49, s[2:3]
	v_cmp_class_f64_e64 s[2:3], v[50:51], s42
	s_mov_b64 s[38:39], 0
	s_nop 0
	v_cndmask_b32_e64 v55, v48, v49, s[2:3]
	v_cndmask_b32_e64 v48, v67, 0, s[4:5]
	v_cndmask_b32_e32 v49, 0, v53, vcc
	v_cmp_class_f64_e64 vcc, v[52:53], s42
	v_bfi_b32 v56, s18, v48, v49
	s_or_b64 s[2:3], vcc, s[2:3]
	v_cndmask_b32_e32 v55, v55, v56, vcc
	v_cndmask_b32_e64 v54, v54, 0, s[2:3]
	v_cmp_o_f64_e32 vcc, v[52:53], v[50:51]
	v_add_f64 v[48:49], s[14:15], -2.0
	s_lshl_b64 s[14:15], s[36:37], 3
	v_cndmask_b32_e32 v50, 0, v54, vcc
	v_cndmask_b32_e32 v51, v68, v55, vcc
	s_branch .LBB30_12
.LBB30_11:                              ;   in Loop: Header=BB30_12 Depth=1
	s_or_b64 exec, exec, s[40:41]
	v_lshl_add_u64 v[46:47], s[36:37], 3, v[46:47]
	v_cmp_ge_u64_e32 vcc, v[46:47], v[44:45]
	v_lshl_add_u64 v[54:55], v[10:11], 0, v[22:23]
	s_or_b64 s[38:39], vcc, s[38:39]
	v_lshl_add_u64 v[22:23], v[22:23], 0, s[14:15]
	global_store_dwordx2 v[54:55], v[52:53], off
	s_andn2_b64 exec, exec, s[38:39]
	s_cbranch_execz .LBB30_14
.LBB30_12:                              ; =>This Inner Loop Header: Depth=1
	v_mov_b64_e32 v[52:53], 0
	s_and_saveexec_b64 s[40:41], s[0:1]
	s_cbranch_execz .LBB30_11
; %bb.13:                               ;   in Loop: Header=BB30_12 Depth=1
	v_lshl_add_u64 v[54:55], v[6:7], 0, v[22:23]
	v_lshl_add_u64 v[52:53], v[8:9], 0, v[22:23]
	global_load_dwordx2 v[56:57], v[54:55], off
	global_load_dwordx2 v[58:59], v[52:53], off
	s_mov_b32 s18, s8
	s_mov_b32 s28, s12
	;; [unrolled: 1-line block ×3, first 2 shown]
	s_waitcnt vmcnt(0)
	v_add_f64 v[52:53], v[56:57], -v[58:59]
	v_cmp_neq_f64_e64 vcc, |v[52:53]|, 1.0
	s_nop 1
	v_cndmask_b32_e32 v55, v66, v49, vcc
	v_cndmask_b32_e32 v54, 0, v48, vcc
	v_cmp_neq_f64_e32 vcc, 0, v[54:55]
	s_nop 1
	v_cndmask_b32_e32 v57, v66, v53, vcc
	v_cndmask_b32_e32 v56, 0, v52, vcc
	v_frexp_mant_f64_e64 v[58:59], |v[56:57]|
	v_cmp_gt_f64_e32 vcc, s[8:9], v[58:59]
	v_cmp_eq_f64_e64 s[44:45], |v[56:57]|, 0
	s_nop 0
	v_cndmask_b32_e64 v60, 0, 1, vcc
	v_ldexp_f64 v[58:59], v[58:59], v60
	v_add_f64 v[60:61], v[58:59], 1.0
	v_rcp_f64_e32 v[62:63], v[60:61]
	s_nop 0
	v_fma_f64 v[64:65], -v[60:61], v[62:63], 1.0
	v_fmac_f64_e32 v[62:63], v[64:65], v[62:63]
	v_fma_f64 v[64:65], -v[60:61], v[62:63], 1.0
	v_fmac_f64_e32 v[62:63], v[64:65], v[62:63]
	v_add_f64 v[64:65], v[60:61], -1.0
	v_add_f64 v[64:65], v[58:59], -v[64:65]
	v_add_f64 v[58:59], v[58:59], -1.0
	v_mul_f64 v[70:71], v[58:59], v[62:63]
	v_mul_f64 v[72:73], v[60:61], v[70:71]
	v_fma_f64 v[60:61], v[70:71], v[60:61], -v[72:73]
	v_fmac_f64_e32 v[60:61], v[70:71], v[64:65]
	v_add_f64 v[64:65], v[72:73], v[60:61]
	v_add_f64 v[72:73], v[64:65], -v[72:73]
	v_add_f64 v[60:61], v[72:73], -v[60:61]
	;; [unrolled: 1-line block ×5, first 2 shown]
	v_add_f64 v[58:59], v[60:61], v[58:59]
	v_add_f64 v[58:59], v[72:73], v[58:59]
	v_mul_f64 v[58:59], v[62:63], v[58:59]
	v_add_f64 v[60:61], v[70:71], v[58:59]
	v_add_f64 v[62:63], v[60:61], -v[70:71]
	v_add_f64 v[58:59], v[58:59], -v[62:63]
	v_mul_f64 v[64:65], v[60:61], v[60:61]
	v_fma_f64 v[70:71], v[60:61], v[60:61], -v[64:65]
	v_add_f64 v[62:63], v[58:59], v[58:59]
	v_fmac_f64_e32 v[70:71], v[60:61], v[62:63]
	v_add_f64 v[62:63], v[64:65], v[70:71]
	v_add_f64 v[64:65], v[62:63], -v[64:65]
	v_add_f64 v[64:65], v[70:71], -v[64:65]
	v_mov_b64_e32 v[70:71], v[0:1]
	v_fmac_f64_e32 v[70:71], s[10:11], v[62:63]
	v_mov_b64_e32 v[72:73], v[2:3]
	v_fmac_f64_e32 v[72:73], v[62:63], v[70:71]
	;; [unrolled: 2-line block ×8, first 2 shown]
	v_mul_f64 v[70:71], v[60:61], v[62:63]
	v_fma_f64 v[74:75], v[62:63], v[60:61], -v[70:71]
	v_mul_f64 v[76:77], v[62:63], v[72:73]
	v_fmac_f64_e32 v[74:75], v[62:63], v[58:59]
	v_fma_f64 v[62:63], v[62:63], v[72:73], -v[76:77]
	v_fmac_f64_e32 v[62:63], v[64:65], v[72:73]
	v_fmac_f64_e32 v[74:75], v[64:65], v[60:61]
	v_add_f64 v[64:65], v[76:77], v[62:63]
	v_add_f64 v[72:73], v[64:65], -v[76:77]
	v_add_f64 v[62:63], v[62:63], -v[72:73]
	v_add_f64 v[72:73], v[64:65], s[8:9]
	v_add_f64 v[76:77], v[72:73], s[18:19]
	v_add_f64 v[64:65], v[64:65], -v[76:77]
	v_add_f64 v[62:63], v[62:63], s[22:23]
	v_add_f64 v[62:63], v[62:63], v[64:65]
	;; [unrolled: 1-line block ×3, first 2 shown]
	v_add_f64 v[72:73], v[72:73], -v[64:65]
	v_add_f64 v[62:63], v[62:63], v[72:73]
	v_add_f64 v[72:73], v[70:71], v[74:75]
	v_mul_f64 v[76:77], v[72:73], v[64:65]
	v_fma_f64 v[78:79], v[72:73], v[64:65], -v[76:77]
	v_fmac_f64_e32 v[78:79], v[72:73], v[62:63]
	v_add_f64 v[62:63], v[72:73], -v[70:71]
	v_add_f64 v[62:63], v[74:75], -v[62:63]
	v_fmac_f64_e32 v[78:79], v[62:63], v[64:65]
	v_frexp_exp_i32_f64_e32 v62, v[56:57]
	v_subbrev_co_u32_e32 v62, vcc, 0, v62, vcc
	v_cvt_f64_i32_e32 v[62:63], v62
	v_mul_f64 v[64:65], v[62:63], s[12:13]
	v_fma_f64 v[70:71], v[62:63], s[12:13], -v[64:65]
	v_fmac_f64_e32 v[70:71], s[16:17], v[62:63]
	v_add_f64 v[62:63], v[64:65], v[70:71]
	v_add_f64 v[64:65], v[62:63], -v[64:65]
	v_add_f64 v[64:65], v[70:71], -v[64:65]
	v_add_f64 v[70:71], v[76:77], v[78:79]
	v_ldexp_f64 v[60:61], v[60:61], 1
	v_add_f64 v[72:73], v[70:71], -v[76:77]
	v_add_f64 v[74:75], v[60:61], v[70:71]
	v_add_f64 v[72:73], v[78:79], -v[72:73]
	v_add_f64 v[60:61], v[74:75], -v[60:61]
	v_ldexp_f64 v[58:59], v[58:59], 1
	v_add_f64 v[60:61], v[70:71], -v[60:61]
	v_add_f64 v[58:59], v[58:59], v[72:73]
	v_add_f64 v[58:59], v[58:59], v[60:61]
	;; [unrolled: 1-line block ×3, first 2 shown]
	v_add_f64 v[70:71], v[60:61], -v[74:75]
	v_add_f64 v[58:59], v[58:59], -v[70:71]
	v_add_f64 v[70:71], v[62:63], v[60:61]
	v_add_f64 v[72:73], v[70:71], -v[62:63]
	v_add_f64 v[60:61], v[60:61], -v[72:73]
	v_add_f64 v[72:73], v[70:71], -v[72:73]
	v_add_f64 v[62:63], v[62:63], -v[72:73]
	v_add_f64 v[60:61], v[60:61], v[62:63]
	v_add_f64 v[62:63], v[64:65], v[58:59]
	v_add_f64 v[72:73], v[62:63], -v[64:65]
	v_add_f64 v[58:59], v[58:59], -v[72:73]
	;; [unrolled: 1-line block ×3, first 2 shown]
	v_add_f64 v[60:61], v[62:63], v[60:61]
	v_add_f64 v[64:65], v[64:65], -v[72:73]
	v_add_f64 v[62:63], v[70:71], v[60:61]
	v_add_f64 v[58:59], v[58:59], v[64:65]
	v_add_f64 v[64:65], v[62:63], -v[70:71]
	v_add_f64 v[60:61], v[60:61], -v[64:65]
	v_add_f64 v[58:59], v[58:59], v[60:61]
	v_add_f64 v[60:61], v[62:63], v[58:59]
	v_add_f64 v[62:63], v[60:61], -v[62:63]
	v_add_f64 v[58:59], v[58:59], -v[62:63]
	v_mul_f64 v[62:63], v[54:55], v[60:61]
	v_fma_f64 v[60:61], v[54:55], v[60:61], -v[62:63]
	v_fmac_f64_e32 v[60:61], v[54:55], v[58:59]
	v_cmp_class_f64_e64 vcc, v[62:63], s42
	v_add_f64 v[58:59], v[62:63], v[60:61]
	v_mov_b64_e32 v[70:71], v[26:27]
	v_cndmask_b32_e32 v65, v59, v63, vcc
	v_cndmask_b32_e32 v64, v58, v62, vcc
	v_add_f64 v[58:59], v[58:59], -v[62:63]
	v_add_f64 v[58:59], v[60:61], -v[58:59]
	v_mul_f64 v[60:61], v[64:65], s[26:27]
	v_rndne_f64_e32 v[60:61], v[60:61]
	v_cmp_neq_f64_e64 vcc, |v[64:65]|, s[24:25]
	v_fma_f64 v[62:63], s[28:29], v[60:61], v[64:65]
	v_cmp_nlt_f64_e64 s[2:3], s[6:7], v[64:65]
	v_cndmask_b32_e32 v59, 0, v59, vcc
	v_cndmask_b32_e32 v58, 0, v58, vcc
	v_cmp_ngt_f64_e32 vcc, s[20:21], v[64:65]
	v_fmac_f64_e32 v[62:63], s[30:31], v[60:61]
	v_mov_b64_e32 v[64:65], v[24:25]
	v_fmac_f64_e32 v[64:65], s[34:35], v[62:63]
	v_fmac_f64_e32 v[70:71], v[62:63], v[64:65]
	v_mov_b64_e32 v[64:65], v[28:29]
	v_fmac_f64_e32 v[64:65], v[62:63], v[70:71]
	v_mov_b64_e32 v[70:71], v[30:31]
	;; [unrolled: 2-line block ×7, first 2 shown]
	v_fmac_f64_e32 v[64:65], v[62:63], v[70:71]
	v_fma_f64 v[64:65], v[62:63], v[64:65], 1.0
	v_fma_f64 v[62:63], v[62:63], v[64:65], 1.0
	v_cvt_i32_f64_e32 v60, v[60:61]
	v_ldexp_f64 v[60:61], v[62:63], v60
	s_and_b64 s[4:5], vcc, s[2:3]
	v_cndmask_b32_e64 v61, v67, v61, s[2:3]
	v_cndmask_b32_e32 v61, 0, v61, vcc
	v_cndmask_b32_e64 v60, 0, v60, s[4:5]
	v_mov_b64_e32 v[62:63], v[60:61]
	v_cmp_neq_f64_e64 s[2:3], v[54:55], |v[54:55]|
	v_cmp_lt_f64_e64 s[4:5], |v[56:57]|, 1.0
	v_fmac_f64_e32 v[62:63], v[62:63], v[58:59]
	v_cmp_class_f64_e64 vcc, v[60:61], s42
	s_xor_b64 s[2:3], s[2:3], s[4:5]
	v_cmp_class_f64_e64 s[4:5], v[56:57], s42
	v_cndmask_b32_e32 v58, v63, v61, vcc
	v_cndmask_b32_e32 v59, v62, v60, vcc
	v_cndmask_b32_e64 v60, v67, 0, s[2:3]
	v_cmp_neq_f64_e64 vcc, |v[56:57]|, 1.0
	v_cmp_gt_f64_e64 s[2:3], 0, v[54:55]
	v_and_b32_e32 v58, 0x7fffffff, v58
	v_cndmask_b32_e32 v60, v66, v60, vcc
	v_cmp_class_f64_e64 vcc, v[54:55], s42
	s_xor_b64 s[2:3], s[2:3], s[44:45]
	s_nop 0
	v_cndmask_b32_e32 v58, v58, v60, vcc
	v_cndmask_b32_e64 v60, v67, 0, s[2:3]
	s_or_b64 s[2:3], s[44:45], s[4:5]
	v_cndmask_b32_e64 v58, v58, v60, s[2:3]
	s_or_b64 s[2:3], s[2:3], vcc
	v_cndmask_b32_e64 v59, v59, 0, s[2:3]
	v_cmp_o_f64_e64 vcc, |v[56:57]|, v[54:55]
	s_nop 1
	v_cndmask_b32_e32 v54, 0, v59, vcc
	v_cndmask_b32_e32 v55, v68, v58, vcc
	v_mul_f64 v[52:53], v[52:53], v[54:55]
	v_mul_f64 v[52:53], v[34:35], v[52:53]
	v_div_scale_f64 v[54:55], s[2:3], v[50:51], v[50:51], v[52:53]
	v_rcp_f64_e32 v[56:57], v[54:55]
	s_nop 0
	v_fma_f64 v[58:59], -v[54:55], v[56:57], 1.0
	v_fmac_f64_e32 v[56:57], v[56:57], v[58:59]
	v_fma_f64 v[58:59], -v[54:55], v[56:57], 1.0
	v_fmac_f64_e32 v[56:57], v[56:57], v[58:59]
	v_div_scale_f64 v[58:59], vcc, v[52:53], v[50:51], v[52:53]
	v_mul_f64 v[60:61], v[58:59], v[56:57]
	v_fma_f64 v[54:55], -v[54:55], v[60:61], v[58:59]
	s_nop 1
	v_div_fmas_f64 v[54:55], v[54:55], v[56:57], v[60:61]
	v_div_fixup_f64 v[52:53], v[54:55], v[50:51], v[52:53]
	s_branch .LBB30_11
.LBB30_14:
	s_endpgm
	.section	.rodata,"a",@progbits
	.p2align	6, 0x0
	.amdhsa_kernel _ZN2at6native12_GLOBAL__N_131cdist_backward_kernel_cuda_implIdNS1_5distsIdE1pEEEvPT_PKS6_S9_S9_S9_S6_lllllll
		.amdhsa_group_segment_fixed_size 0
		.amdhsa_private_segment_fixed_size 0
		.amdhsa_kernarg_size 360
		.amdhsa_user_sgpr_count 2
		.amdhsa_user_sgpr_dispatch_ptr 0
		.amdhsa_user_sgpr_queue_ptr 0
		.amdhsa_user_sgpr_kernarg_segment_ptr 1
		.amdhsa_user_sgpr_dispatch_id 0
		.amdhsa_user_sgpr_kernarg_preload_length 0
		.amdhsa_user_sgpr_kernarg_preload_offset 0
		.amdhsa_user_sgpr_private_segment_size 0
		.amdhsa_uses_dynamic_stack 0
		.amdhsa_enable_private_segment 0
		.amdhsa_system_sgpr_workgroup_id_x 1
		.amdhsa_system_sgpr_workgroup_id_y 1
		.amdhsa_system_sgpr_workgroup_id_z 1
		.amdhsa_system_sgpr_workgroup_info 0
		.amdhsa_system_vgpr_workitem_id 1
		.amdhsa_next_free_vgpr 80
		.amdhsa_next_free_sgpr 46
		.amdhsa_accum_offset 80
		.amdhsa_reserve_vcc 1
		.amdhsa_float_round_mode_32 0
		.amdhsa_float_round_mode_16_64 0
		.amdhsa_float_denorm_mode_32 3
		.amdhsa_float_denorm_mode_16_64 3
		.amdhsa_dx10_clamp 1
		.amdhsa_ieee_mode 1
		.amdhsa_fp16_overflow 0
		.amdhsa_tg_split 0
		.amdhsa_exception_fp_ieee_invalid_op 0
		.amdhsa_exception_fp_denorm_src 0
		.amdhsa_exception_fp_ieee_div_zero 0
		.amdhsa_exception_fp_ieee_overflow 0
		.amdhsa_exception_fp_ieee_underflow 0
		.amdhsa_exception_fp_ieee_inexact 0
		.amdhsa_exception_int_div_zero 0
	.end_amdhsa_kernel
	.section	.text._ZN2at6native12_GLOBAL__N_131cdist_backward_kernel_cuda_implIdNS1_5distsIdE1pEEEvPT_PKS6_S9_S9_S9_S6_lllllll,"axG",@progbits,_ZN2at6native12_GLOBAL__N_131cdist_backward_kernel_cuda_implIdNS1_5distsIdE1pEEEvPT_PKS6_S9_S9_S9_S6_lllllll,comdat
.Lfunc_end30:
	.size	_ZN2at6native12_GLOBAL__N_131cdist_backward_kernel_cuda_implIdNS1_5distsIdE1pEEEvPT_PKS6_S9_S9_S9_S6_lllllll, .Lfunc_end30-_ZN2at6native12_GLOBAL__N_131cdist_backward_kernel_cuda_implIdNS1_5distsIdE1pEEEvPT_PKS6_S9_S9_S9_S6_lllllll
                                        ; -- End function
	.set _ZN2at6native12_GLOBAL__N_131cdist_backward_kernel_cuda_implIdNS1_5distsIdE1pEEEvPT_PKS6_S9_S9_S9_S6_lllllll.num_vgpr, 80
	.set _ZN2at6native12_GLOBAL__N_131cdist_backward_kernel_cuda_implIdNS1_5distsIdE1pEEEvPT_PKS6_S9_S9_S9_S6_lllllll.num_agpr, 0
	.set _ZN2at6native12_GLOBAL__N_131cdist_backward_kernel_cuda_implIdNS1_5distsIdE1pEEEvPT_PKS6_S9_S9_S9_S6_lllllll.numbered_sgpr, 46
	.set _ZN2at6native12_GLOBAL__N_131cdist_backward_kernel_cuda_implIdNS1_5distsIdE1pEEEvPT_PKS6_S9_S9_S9_S6_lllllll.num_named_barrier, 0
	.set _ZN2at6native12_GLOBAL__N_131cdist_backward_kernel_cuda_implIdNS1_5distsIdE1pEEEvPT_PKS6_S9_S9_S9_S6_lllllll.private_seg_size, 0
	.set _ZN2at6native12_GLOBAL__N_131cdist_backward_kernel_cuda_implIdNS1_5distsIdE1pEEEvPT_PKS6_S9_S9_S9_S6_lllllll.uses_vcc, 1
	.set _ZN2at6native12_GLOBAL__N_131cdist_backward_kernel_cuda_implIdNS1_5distsIdE1pEEEvPT_PKS6_S9_S9_S9_S6_lllllll.uses_flat_scratch, 0
	.set _ZN2at6native12_GLOBAL__N_131cdist_backward_kernel_cuda_implIdNS1_5distsIdE1pEEEvPT_PKS6_S9_S9_S9_S6_lllllll.has_dyn_sized_stack, 0
	.set _ZN2at6native12_GLOBAL__N_131cdist_backward_kernel_cuda_implIdNS1_5distsIdE1pEEEvPT_PKS6_S9_S9_S9_S6_lllllll.has_recursion, 0
	.set _ZN2at6native12_GLOBAL__N_131cdist_backward_kernel_cuda_implIdNS1_5distsIdE1pEEEvPT_PKS6_S9_S9_S9_S6_lllllll.has_indirect_call, 0
	.section	.AMDGPU.csdata,"",@progbits
; Kernel info:
; codeLenInByte = 5512
; TotalNumSgprs: 52
; NumVgprs: 80
; NumAgprs: 0
; TotalNumVgprs: 80
; ScratchSize: 0
; MemoryBound: 0
; FloatMode: 240
; IeeeMode: 1
; LDSByteSize: 0 bytes/workgroup (compile time only)
; SGPRBlocks: 6
; VGPRBlocks: 9
; NumSGPRsForWavesPerEU: 52
; NumVGPRsForWavesPerEU: 80
; AccumOffset: 80
; Occupancy: 6
; WaveLimiterHint : 0
; COMPUTE_PGM_RSRC2:SCRATCH_EN: 0
; COMPUTE_PGM_RSRC2:USER_SGPR: 2
; COMPUTE_PGM_RSRC2:TRAP_HANDLER: 0
; COMPUTE_PGM_RSRC2:TGID_X_EN: 1
; COMPUTE_PGM_RSRC2:TGID_Y_EN: 1
; COMPUTE_PGM_RSRC2:TGID_Z_EN: 1
; COMPUTE_PGM_RSRC2:TIDIG_COMP_CNT: 1
; COMPUTE_PGM_RSRC3_GFX90A:ACCUM_OFFSET: 19
; COMPUTE_PGM_RSRC3_GFX90A:TG_SPLIT: 0
	.section	.text._ZN2at6native12_GLOBAL__N_131cdist_backward_kernel_cuda_implIdNS1_5distsIdE3oneEEEvPT_PKS6_S9_S9_S9_S6_lllllll,"axG",@progbits,_ZN2at6native12_GLOBAL__N_131cdist_backward_kernel_cuda_implIdNS1_5distsIdE3oneEEEvPT_PKS6_S9_S9_S9_S6_lllllll,comdat
	.globl	_ZN2at6native12_GLOBAL__N_131cdist_backward_kernel_cuda_implIdNS1_5distsIdE3oneEEEvPT_PKS6_S9_S9_S9_S6_lllllll ; -- Begin function _ZN2at6native12_GLOBAL__N_131cdist_backward_kernel_cuda_implIdNS1_5distsIdE3oneEEEvPT_PKS6_S9_S9_S9_S6_lllllll
	.p2align	8
	.type	_ZN2at6native12_GLOBAL__N_131cdist_backward_kernel_cuda_implIdNS1_5distsIdE3oneEEEvPT_PKS6_S9_S9_S9_S6_lllllll,@function
_ZN2at6native12_GLOBAL__N_131cdist_backward_kernel_cuda_implIdNS1_5distsIdE3oneEEEvPT_PKS6_S9_S9_S9_S6_lllllll: ; @_ZN2at6native12_GLOBAL__N_131cdist_backward_kernel_cuda_implIdNS1_5distsIdE3oneEEEvPT_PKS6_S9_S9_S9_S6_lllllll
; %bb.0:
	s_load_dwordx2 s[24:25], s[0:1], 0x70
	s_load_dwordx8 s[8:15], s[0:1], 0x30
	s_add_u32 s6, s0, 0x68
	s_addc_u32 s7, s1, 0
	v_bfe_u32 v1, v0, 10, 10
	s_waitcnt lgkmcnt(0)
	s_mul_i32 s3, s24, s3
	s_add_i32 s3, s3, s4
	s_lshr_b32 s4, s25, 16
	s_mul_i32 s3, s3, s4
	v_add_u32_e32 v2, s3, v1
	v_ashrrev_i32_e32 v3, 31, v2
	v_cmp_gt_i64_e32 vcc, s[14:15], v[2:3]
	s_and_saveexec_b64 s[4:5], vcc
	s_cbranch_execz .LBB31_12
; %bb.1:
	s_load_dwordx8 s[16:23], s[0:1], 0x50
	s_and_b32 s24, s25, 0xffff
	s_mul_i32 s2, s2, s24
	v_and_b32_e32 v0, 0x3ff, v0
	v_add_u32_e32 v0, s2, v0
	v_ashrrev_i32_e32 v1, 31, v0
	v_cmp_gt_i64_e32 vcc, s[12:13], v[0:1]
	s_and_b64 exec, exec, vcc
	s_cbranch_execz .LBB31_12
; %bb.2:
	s_waitcnt lgkmcnt(0)
	v_or_b32_e32 v7, s17, v3
	v_mov_b32_e32 v6, 0
	v_cmp_ne_u64_e32 vcc, 0, v[6:7]
                                        ; implicit-def: $vgpr4_vgpr5
	s_and_saveexec_b64 s[2:3], vcc
	s_xor_b64 s[4:5], exec, s[2:3]
	s_cbranch_execz .LBB31_4
; %bb.3:
	s_ashr_i32 s14, s17, 31
	s_add_u32 s2, s16, s14
	s_mov_b32 s15, s14
	s_addc_u32 s3, s17, s14
	s_xor_b64 s[22:23], s[2:3], s[14:15]
	v_cvt_f32_u32_e32 v4, s22
	v_cvt_f32_u32_e32 v5, s23
	s_sub_u32 s15, 0, s22
	s_subb_u32 s25, 0, s23
	v_mov_b32_e32 v11, v6
	v_fmamk_f32 v4, v5, 0x4f800000, v4
	v_rcp_f32_e32 v4, v4
	s_nop 0
	v_mul_f32_e32 v4, 0x5f7ffffc, v4
	v_mul_f32_e32 v5, 0x2f800000, v4
	v_trunc_f32_e32 v5, v5
	v_fmamk_f32 v4, v5, 0xcf800000, v4
	v_cvt_u32_f32_e32 v5, v5
	v_cvt_u32_f32_e32 v4, v4
	v_readfirstlane_b32 s26, v5
	v_readfirstlane_b32 s2, v4
	s_mul_i32 s3, s15, s26
	s_mul_hi_u32 s28, s15, s2
	s_mul_i32 s27, s25, s2
	s_add_i32 s3, s28, s3
	s_add_i32 s3, s3, s27
	s_mul_i32 s29, s15, s2
	s_mul_i32 s28, s2, s3
	s_mul_hi_u32 s30, s2, s29
	s_mul_hi_u32 s27, s2, s3
	s_add_u32 s28, s30, s28
	s_addc_u32 s27, 0, s27
	s_mul_hi_u32 s31, s26, s29
	s_mul_i32 s29, s26, s29
	s_add_u32 s28, s28, s29
	s_mul_hi_u32 s30, s26, s3
	s_addc_u32 s27, s27, s31
	s_addc_u32 s28, s30, 0
	s_mul_i32 s3, s26, s3
	s_add_u32 s3, s27, s3
	s_addc_u32 s27, 0, s28
	s_add_u32 s28, s2, s3
	s_cselect_b64 s[2:3], -1, 0
	s_cmp_lg_u64 s[2:3], 0
	s_addc_u32 s26, s26, s27
	s_mul_i32 s2, s15, s26
	s_mul_hi_u32 s3, s15, s28
	s_add_i32 s2, s3, s2
	s_mul_i32 s25, s25, s28
	s_add_i32 s2, s2, s25
	s_mul_i32 s15, s15, s28
	s_mul_hi_u32 s25, s26, s15
	s_mul_i32 s27, s26, s15
	s_mul_i32 s30, s28, s2
	s_mul_hi_u32 s15, s28, s15
	s_mul_hi_u32 s29, s28, s2
	s_add_u32 s15, s15, s30
	s_addc_u32 s29, 0, s29
	s_add_u32 s15, s15, s27
	s_mul_hi_u32 s3, s26, s2
	s_addc_u32 s15, s29, s25
	s_addc_u32 s3, s3, 0
	s_mul_i32 s2, s26, s2
	s_add_u32 s2, s15, s2
	s_addc_u32 s15, 0, s3
	s_add_u32 s25, s28, s2
	v_ashrrev_i32_e32 v4, 31, v3
	s_cselect_b64 s[2:3], -1, 0
	v_mov_b32_e32 v5, v4
	s_cmp_lg_u64 s[2:3], 0
	v_lshl_add_u64 v[8:9], v[2:3], 0, v[4:5]
	s_addc_u32 s15, s26, s15
	v_xor_b32_e32 v14, v8, v4
	v_xor_b32_e32 v5, v9, v4
	v_mad_u64_u32 v[8:9], s[2:3], v14, s15, 0
	v_mul_hi_u32 v10, v14, s25
	v_lshl_add_u64 v[8:9], v[10:11], 0, v[8:9]
	v_mad_u64_u32 v[12:13], s[2:3], v5, s25, 0
	v_add_co_u32_e32 v7, vcc, v8, v12
	v_mad_u64_u32 v[10:11], s[2:3], v5, s15, 0
	s_nop 0
	v_addc_co_u32_e32 v8, vcc, v9, v13, vcc
	v_mov_b32_e32 v9, v6
	s_nop 0
	v_addc_co_u32_e32 v11, vcc, 0, v11, vcc
	v_lshl_add_u64 v[6:7], v[8:9], 0, v[10:11]
	v_mul_lo_u32 v10, s23, v6
	v_mul_lo_u32 v11, s22, v7
	v_mad_u64_u32 v[8:9], s[2:3], s22, v6, 0
	v_add3_u32 v12, v9, v11, v10
	v_sub_u32_e32 v9, v5, v12
	v_mov_b32_e32 v10, s23
	v_sub_co_u32_e32 v13, vcc, v14, v8
	s_nop 1
	v_subb_co_u32_e64 v8, s[2:3], v9, v10, vcc
	v_subrev_co_u32_e64 v9, s[2:3], s22, v13
	v_subb_co_u32_e32 v5, vcc, v5, v12, vcc
	s_nop 0
	v_subbrev_co_u32_e64 v8, s[2:3], 0, v8, s[2:3]
	v_cmp_le_u32_e64 s[2:3], s23, v8
	v_cmp_le_u32_e32 vcc, s23, v5
	s_nop 0
	v_cndmask_b32_e64 v10, 0, -1, s[2:3]
	v_cmp_le_u32_e64 s[2:3], s22, v9
	s_nop 1
	v_cndmask_b32_e64 v9, 0, -1, s[2:3]
	v_cmp_eq_u32_e64 s[2:3], s23, v8
	s_nop 1
	v_cndmask_b32_e64 v14, v10, v9, s[2:3]
	v_lshl_add_u64 v[8:9], v[6:7], 0, 2
	v_lshl_add_u64 v[10:11], v[6:7], 0, 1
	v_cmp_ne_u32_e64 s[2:3], 0, v14
	s_nop 1
	v_cndmask_b32_e64 v9, v11, v9, s[2:3]
	v_cndmask_b32_e64 v11, 0, -1, vcc
	v_cmp_le_u32_e32 vcc, s22, v13
	s_nop 1
	v_cndmask_b32_e64 v12, 0, -1, vcc
	v_cmp_eq_u32_e32 vcc, s23, v5
	s_nop 1
	v_cndmask_b32_e32 v5, v11, v12, vcc
	v_cmp_ne_u32_e32 vcc, 0, v5
	s_nop 1
	v_cndmask_b32_e32 v5, v7, v9, vcc
	v_cndmask_b32_e64 v7, v10, v8, s[2:3]
	v_cndmask_b32_e32 v6, v6, v7, vcc
	v_xor_b32_e32 v7, s14, v4
	v_xor_b32_e32 v4, v6, v7
	;; [unrolled: 1-line block ×3, first 2 shown]
	v_sub_co_u32_e32 v4, vcc, v4, v7
	s_nop 1
	v_subb_co_u32_e32 v5, vcc, v5, v7, vcc
.LBB31_4:
	s_andn2_saveexec_b64 s[2:3], s[4:5]
	s_cbranch_execz .LBB31_6
; %bb.5:
	v_cvt_f32_u32_e32 v4, s16
	s_sub_i32 s4, 0, s16
	v_rcp_iflag_f32_e32 v4, v4
	s_nop 0
	v_mul_f32_e32 v4, 0x4f7ffffe, v4
	v_cvt_u32_f32_e32 v4, v4
	v_mul_lo_u32 v5, s4, v4
	v_mul_hi_u32 v5, v4, v5
	v_add_u32_e32 v4, v4, v5
	v_mul_hi_u32 v4, v2, v4
	v_mul_lo_u32 v5, v4, s16
	v_sub_u32_e32 v5, v2, v5
	v_add_u32_e32 v6, 1, v4
	v_subrev_u32_e32 v7, s16, v5
	v_cmp_le_u32_e32 vcc, s16, v5
	s_nop 1
	v_cndmask_b32_e32 v5, v5, v7, vcc
	v_cndmask_b32_e32 v4, v4, v6, vcc
	v_add_u32_e32 v6, 1, v4
	v_cmp_le_u32_e32 vcc, s16, v5
	v_mov_b32_e32 v5, 0
	s_nop 0
	v_cndmask_b32_e32 v4, v4, v6, vcc
.LBB31_6:
	s_or_b64 exec, exec, s[2:3]
	v_mul_lo_u32 v5, v5, s16
	v_mul_lo_u32 v6, v4, s17
	v_mad_u64_u32 v[8:9], s[2:3], v4, s16, 0
	v_add3_u32 v5, v9, v6, v5
	v_sub_co_u32_e32 v6, vcc, v2, v8
	v_mov_b32_e32 v10, 0
	s_nop 0
	v_subb_co_u32_e32 v7, vcc, v3, v5, vcc
	v_or_b32_e32 v11, s11, v7
	v_cmp_ne_u64_e32 vcc, 0, v[10:11]
                                        ; implicit-def: $vgpr16_vgpr17
	s_and_saveexec_b64 s[2:3], vcc
	s_xor_b64 s[4:5], exec, s[2:3]
	s_cbranch_execz .LBB31_8
; %bb.7:
	s_ashr_i32 s14, s11, 31
	s_add_u32 s2, s10, s14
	s_mov_b32 s15, s14
	s_addc_u32 s3, s11, s14
	s_xor_b64 s[16:17], s[2:3], s[14:15]
	v_cvt_f32_u32_e32 v5, s16
	v_cvt_f32_u32_e32 v9, s17
	s_sub_u32 s15, 0, s16
	s_subb_u32 s22, 0, s17
	v_ashrrev_i32_e32 v12, 31, v7
	v_fmamk_f32 v5, v9, 0x4f800000, v5
	v_rcp_f32_e32 v5, v5
	v_mov_b32_e32 v13, v12
	v_lshl_add_u64 v[14:15], v[6:7], 0, v[12:13]
	v_mov_b32_e32 v17, v10
	v_mul_f32_e32 v5, 0x5f7ffffc, v5
	v_mul_f32_e32 v9, 0x2f800000, v5
	v_trunc_f32_e32 v9, v9
	v_fmamk_f32 v5, v9, 0xcf800000, v5
	v_cvt_u32_f32_e32 v9, v9
	v_cvt_u32_f32_e32 v5, v5
	v_readfirstlane_b32 s23, v9
	v_readfirstlane_b32 s2, v5
	s_mul_i32 s3, s15, s23
	s_mul_hi_u32 s26, s15, s2
	s_mul_i32 s25, s22, s2
	s_add_i32 s3, s26, s3
	s_add_i32 s3, s3, s25
	s_mul_i32 s27, s15, s2
	s_mul_i32 s26, s2, s3
	s_mul_hi_u32 s28, s2, s27
	s_mul_hi_u32 s25, s2, s3
	s_add_u32 s26, s28, s26
	s_addc_u32 s25, 0, s25
	s_mul_hi_u32 s29, s23, s27
	s_mul_i32 s27, s23, s27
	s_add_u32 s26, s26, s27
	s_mul_hi_u32 s28, s23, s3
	s_addc_u32 s25, s25, s29
	s_addc_u32 s26, s28, 0
	s_mul_i32 s3, s23, s3
	s_add_u32 s3, s25, s3
	s_addc_u32 s25, 0, s26
	s_add_u32 s26, s2, s3
	s_cselect_b64 s[2:3], -1, 0
	s_cmp_lg_u64 s[2:3], 0
	s_addc_u32 s23, s23, s25
	s_mul_i32 s2, s15, s23
	s_mul_hi_u32 s3, s15, s26
	s_add_i32 s2, s3, s2
	s_mul_i32 s22, s22, s26
	s_add_i32 s2, s2, s22
	s_mul_i32 s15, s15, s26
	s_mul_hi_u32 s22, s23, s15
	s_mul_i32 s25, s23, s15
	s_mul_i32 s28, s26, s2
	s_mul_hi_u32 s15, s26, s15
	s_mul_hi_u32 s27, s26, s2
	s_add_u32 s15, s15, s28
	s_addc_u32 s27, 0, s27
	s_add_u32 s15, s15, s25
	s_mul_hi_u32 s3, s23, s2
	s_addc_u32 s15, s27, s22
	s_addc_u32 s3, s3, 0
	s_mul_i32 s2, s23, s2
	s_add_u32 s2, s15, s2
	s_addc_u32 s15, 0, s3
	s_add_u32 s22, s26, s2
	s_cselect_b64 s[2:3], -1, 0
	s_cmp_lg_u64 s[2:3], 0
	s_addc_u32 s15, s23, s15
	v_xor_b32_e32 v9, v14, v12
	v_xor_b32_e32 v5, v15, v12
	v_mad_u64_u32 v[14:15], s[2:3], v9, s15, 0
	v_mul_hi_u32 v16, v9, s22
	v_lshl_add_u64 v[14:15], v[16:17], 0, v[14:15]
	v_mad_u64_u32 v[18:19], s[2:3], v5, s22, 0
	v_add_co_u32_e32 v11, vcc, v14, v18
	v_mad_u64_u32 v[16:17], s[2:3], v5, s15, 0
	s_nop 0
	v_addc_co_u32_e32 v14, vcc, v15, v19, vcc
	v_mov_b32_e32 v15, v10
	s_nop 0
	v_addc_co_u32_e32 v17, vcc, 0, v17, vcc
	v_lshl_add_u64 v[10:11], v[14:15], 0, v[16:17]
	v_mul_lo_u32 v13, s17, v10
	v_mul_lo_u32 v16, s16, v11
	v_mad_u64_u32 v[14:15], s[2:3], s16, v10, 0
	v_add3_u32 v13, v15, v16, v13
	v_sub_u32_e32 v15, v5, v13
	v_mov_b32_e32 v16, s17
	v_sub_co_u32_e32 v9, vcc, v9, v14
	s_nop 1
	v_subb_co_u32_e64 v14, s[2:3], v15, v16, vcc
	v_subrev_co_u32_e64 v15, s[2:3], s16, v9
	v_subb_co_u32_e32 v5, vcc, v5, v13, vcc
	s_nop 0
	v_subbrev_co_u32_e64 v14, s[2:3], 0, v14, s[2:3]
	v_cmp_le_u32_e64 s[2:3], s17, v14
	v_cmp_le_u32_e32 vcc, s17, v5
	s_nop 0
	v_cndmask_b32_e64 v16, 0, -1, s[2:3]
	v_cmp_le_u32_e64 s[2:3], s16, v15
	v_cndmask_b32_e64 v13, 0, -1, vcc
	v_cmp_le_u32_e32 vcc, s16, v9
	v_cndmask_b32_e64 v15, 0, -1, s[2:3]
	v_cmp_eq_u32_e64 s[2:3], s17, v14
	v_cndmask_b32_e64 v9, 0, -1, vcc
	v_cmp_eq_u32_e32 vcc, s17, v5
	v_cndmask_b32_e64 v18, v16, v15, s[2:3]
	v_lshl_add_u64 v[14:15], v[10:11], 0, 2
	v_lshl_add_u64 v[16:17], v[10:11], 0, 1
	v_cmp_ne_u32_e64 s[2:3], 0, v18
	v_cndmask_b32_e32 v5, v13, v9, vcc
	v_cmp_ne_u32_e32 vcc, 0, v5
	v_cndmask_b32_e64 v9, v16, v14, s[2:3]
	v_cndmask_b32_e64 v15, v17, v15, s[2:3]
	v_cndmask_b32_e32 v9, v10, v9, vcc
	v_xor_b32_e32 v10, s14, v12
	v_cndmask_b32_e32 v5, v11, v15, vcc
	v_xor_b32_e32 v9, v9, v10
	v_xor_b32_e32 v5, v5, v10
	v_sub_co_u32_e32 v16, vcc, v9, v10
	s_nop 1
	v_subb_co_u32_e32 v17, vcc, v5, v10, vcc
.LBB31_8:
	s_or_saveexec_b64 s[2:3], s[4:5]
	s_load_dword s4, s[6:7], 0x0
	s_xor_b64 exec, exec, s[2:3]
	s_cbranch_execz .LBB31_10
; %bb.9:
	v_cvt_f32_u32_e32 v5, s10
	s_sub_i32 s5, 0, s10
	v_mov_b32_e32 v17, 0
	v_rcp_iflag_f32_e32 v5, v5
	s_nop 0
	v_mul_f32_e32 v5, 0x4f7ffffe, v5
	v_cvt_u32_f32_e32 v5, v5
	v_mul_lo_u32 v9, s5, v5
	v_mul_hi_u32 v9, v5, v9
	v_add_u32_e32 v5, v5, v9
	v_mul_hi_u32 v5, v6, v5
	v_mul_lo_u32 v9, v5, s10
	v_sub_u32_e32 v9, v6, v9
	v_add_u32_e32 v10, 1, v5
	v_subrev_u32_e32 v11, s10, v9
	v_cmp_le_u32_e32 vcc, s10, v9
	s_nop 1
	v_cndmask_b32_e32 v9, v9, v11, vcc
	v_cndmask_b32_e32 v5, v5, v10, vcc
	v_add_u32_e32 v10, 1, v5
	v_cmp_le_u32_e32 vcc, s10, v9
	s_nop 1
	v_cndmask_b32_e32 v16, v5, v10, vcc
.LBB31_10:
	s_or_b64 exec, exec, s[2:3]
	s_load_dwordx8 s[36:43], s[0:1], 0x0
	v_ashrrev_i32_e32 v5, 31, v4
	v_mul_lo_u32 v22, v17, s10
	v_mul_lo_u32 v23, v16, s11
	v_mad_u64_u32 v[20:21], s[0:1], v16, s10, 0
	s_waitcnt lgkmcnt(0)
	v_mov_b32_e32 v10, s38
	v_mov_b32_e32 v11, s39
	v_lshl_add_u64 v[2:3], v[2:3], 3, v[10:11]
	global_load_dwordx2 v[2:3], v[2:3], off
	v_mul_lo_u32 v9, v4, s19
	v_mul_lo_u32 v14, v5, s18
	v_mad_u64_u32 v[12:13], s[0:1], v4, s18, 0
	v_add3_u32 v21, v21, v23, v22
	v_sub_co_u32_e32 v20, vcc, v6, v20
	v_mov_b32_e32 v10, s40
	v_mov_b32_e32 v11, s41
	v_add3_u32 v13, v13, v9, v14
	v_subb_co_u32_e32 v21, vcc, v7, v21, vcc
	v_lshl_add_u64 v[10:11], v[12:13], 3, v[10:11]
	v_mul_lo_u32 v9, v17, s12
	v_mul_lo_u32 v14, v16, s13
	v_mad_u64_u32 v[12:13], s[0:1], v16, s12, 0
	v_mul_lo_u32 v22, v20, s9
	v_mul_lo_u32 v23, v21, s8
	v_mad_u64_u32 v[6:7], s[0:1], v20, s8, v[16:17]
	v_add3_u32 v13, v13, v14, v9
	v_mul_lo_u32 v9, s12, v8
	v_mov_b32_e32 v8, 0
	v_add3_u32 v7, v23, v7, v22
	v_ashrrev_i64 v[8:9], 29, v[8:9]
	v_mul_lo_u32 v16, v7, s12
	v_mul_lo_u32 v17, v6, s13
	v_mad_u64_u32 v[6:7], s[0:1], v6, s12, 0
	v_lshl_add_u64 v[8:9], s[36:37], 0, v[8:9]
	v_add3_u32 v7, v7, v17, v16
	v_lshl_add_u64 v[6:7], v[6:7], 3, v[8:9]
	v_mul_lo_u32 v8, v4, s21
	v_mul_lo_u32 v9, v5, s20
	v_mad_u64_u32 v[4:5], s[0:1], v4, s20, 0
	v_add3_u32 v5, v5, v8, v9
	v_mad_u64_u32 v[8:9], s[0:1], v20, s12, 0
	v_mov_b32_e32 v18, s42
	v_mov_b32_e32 v19, s43
	v_mul_lo_u32 v16, v21, s12
	v_mul_lo_u32 v17, v20, s13
	s_mul_i32 s0, s4, s24
	v_lshl_add_u64 v[10:11], v[12:13], 3, v[10:11]
	v_lshlrev_b64 v[0:1], 3, v[0:1]
	v_lshl_add_u64 v[4:5], v[4:5], 3, v[18:19]
	v_add3_u32 v9, v9, v17, v16
	s_ashr_i32 s1, s0, 31
	v_lshl_add_u64 v[12:13], s[12:13], 3, v[10:11]
	v_lshl_add_u64 v[14:15], v[10:11], 0, v[0:1]
	;; [unrolled: 1-line block ×3, first 2 shown]
	s_lshl_b64 s[2:3], s[0:1], 3
	s_mov_b64 s[4:5], 0
.LBB31_11:                              ; =>This Inner Loop Header: Depth=1
	v_lshl_add_u64 v[16:17], v[10:11], 0, v[0:1]
	v_lshl_add_u64 v[8:9], v[4:5], 0, v[0:1]
	global_load_dwordx2 v[18:19], v[16:17], off
	global_load_dwordx2 v[20:21], v[8:9], off
	v_lshl_add_u64 v[14:15], s[0:1], 3, v[14:15]
	v_cmp_ge_u64_e32 vcc, v[14:15], v[12:13]
	s_or_b64 s[4:5], vcc, s[4:5]
	v_lshl_add_u64 v[8:9], v[6:7], 0, v[0:1]
	v_lshl_add_u64 v[0:1], v[0:1], 0, s[2:3]
	s_waitcnt vmcnt(0)
	v_add_f64 v[16:17], v[18:19], -v[20:21]
	v_cmp_lt_f64_e32 vcc, 0, v[16:17]
	s_nop 1
	v_cndmask_b32_e64 v18, 0, 1, vcc
	v_cmp_gt_f64_e32 vcc, 0, v[16:17]
	s_nop 1
	v_subbrev_co_u32_e32 v16, vcc, 0, v18, vcc
	v_cvt_f64_i32_e32 v[16:17], v16
	v_mul_f64 v[16:17], v[2:3], v[16:17]
	global_store_dwordx2 v[8:9], v[16:17], off
	s_andn2_b64 exec, exec, s[4:5]
	s_cbranch_execnz .LBB31_11
.LBB31_12:
	s_endpgm
	.section	.rodata,"a",@progbits
	.p2align	6, 0x0
	.amdhsa_kernel _ZN2at6native12_GLOBAL__N_131cdist_backward_kernel_cuda_implIdNS1_5distsIdE3oneEEEvPT_PKS6_S9_S9_S9_S6_lllllll
		.amdhsa_group_segment_fixed_size 0
		.amdhsa_private_segment_fixed_size 0
		.amdhsa_kernarg_size 360
		.amdhsa_user_sgpr_count 2
		.amdhsa_user_sgpr_dispatch_ptr 0
		.amdhsa_user_sgpr_queue_ptr 0
		.amdhsa_user_sgpr_kernarg_segment_ptr 1
		.amdhsa_user_sgpr_dispatch_id 0
		.amdhsa_user_sgpr_kernarg_preload_length 0
		.amdhsa_user_sgpr_kernarg_preload_offset 0
		.amdhsa_user_sgpr_private_segment_size 0
		.amdhsa_uses_dynamic_stack 0
		.amdhsa_enable_private_segment 0
		.amdhsa_system_sgpr_workgroup_id_x 1
		.amdhsa_system_sgpr_workgroup_id_y 1
		.amdhsa_system_sgpr_workgroup_id_z 1
		.amdhsa_system_sgpr_workgroup_info 0
		.amdhsa_system_vgpr_workitem_id 1
		.amdhsa_next_free_vgpr 24
		.amdhsa_next_free_sgpr 44
		.amdhsa_accum_offset 24
		.amdhsa_reserve_vcc 1
		.amdhsa_float_round_mode_32 0
		.amdhsa_float_round_mode_16_64 0
		.amdhsa_float_denorm_mode_32 3
		.amdhsa_float_denorm_mode_16_64 3
		.amdhsa_dx10_clamp 1
		.amdhsa_ieee_mode 1
		.amdhsa_fp16_overflow 0
		.amdhsa_tg_split 0
		.amdhsa_exception_fp_ieee_invalid_op 0
		.amdhsa_exception_fp_denorm_src 0
		.amdhsa_exception_fp_ieee_div_zero 0
		.amdhsa_exception_fp_ieee_overflow 0
		.amdhsa_exception_fp_ieee_underflow 0
		.amdhsa_exception_fp_ieee_inexact 0
		.amdhsa_exception_int_div_zero 0
	.end_amdhsa_kernel
	.section	.text._ZN2at6native12_GLOBAL__N_131cdist_backward_kernel_cuda_implIdNS1_5distsIdE3oneEEEvPT_PKS6_S9_S9_S9_S6_lllllll,"axG",@progbits,_ZN2at6native12_GLOBAL__N_131cdist_backward_kernel_cuda_implIdNS1_5distsIdE3oneEEEvPT_PKS6_S9_S9_S9_S6_lllllll,comdat
.Lfunc_end31:
	.size	_ZN2at6native12_GLOBAL__N_131cdist_backward_kernel_cuda_implIdNS1_5distsIdE3oneEEEvPT_PKS6_S9_S9_S9_S6_lllllll, .Lfunc_end31-_ZN2at6native12_GLOBAL__N_131cdist_backward_kernel_cuda_implIdNS1_5distsIdE3oneEEEvPT_PKS6_S9_S9_S9_S6_lllllll
                                        ; -- End function
	.set _ZN2at6native12_GLOBAL__N_131cdist_backward_kernel_cuda_implIdNS1_5distsIdE3oneEEEvPT_PKS6_S9_S9_S9_S6_lllllll.num_vgpr, 24
	.set _ZN2at6native12_GLOBAL__N_131cdist_backward_kernel_cuda_implIdNS1_5distsIdE3oneEEEvPT_PKS6_S9_S9_S9_S6_lllllll.num_agpr, 0
	.set _ZN2at6native12_GLOBAL__N_131cdist_backward_kernel_cuda_implIdNS1_5distsIdE3oneEEEvPT_PKS6_S9_S9_S9_S6_lllllll.numbered_sgpr, 44
	.set _ZN2at6native12_GLOBAL__N_131cdist_backward_kernel_cuda_implIdNS1_5distsIdE3oneEEEvPT_PKS6_S9_S9_S9_S6_lllllll.num_named_barrier, 0
	.set _ZN2at6native12_GLOBAL__N_131cdist_backward_kernel_cuda_implIdNS1_5distsIdE3oneEEEvPT_PKS6_S9_S9_S9_S6_lllllll.private_seg_size, 0
	.set _ZN2at6native12_GLOBAL__N_131cdist_backward_kernel_cuda_implIdNS1_5distsIdE3oneEEEvPT_PKS6_S9_S9_S9_S6_lllllll.uses_vcc, 1
	.set _ZN2at6native12_GLOBAL__N_131cdist_backward_kernel_cuda_implIdNS1_5distsIdE3oneEEEvPT_PKS6_S9_S9_S9_S6_lllllll.uses_flat_scratch, 0
	.set _ZN2at6native12_GLOBAL__N_131cdist_backward_kernel_cuda_implIdNS1_5distsIdE3oneEEEvPT_PKS6_S9_S9_S9_S6_lllllll.has_dyn_sized_stack, 0
	.set _ZN2at6native12_GLOBAL__N_131cdist_backward_kernel_cuda_implIdNS1_5distsIdE3oneEEEvPT_PKS6_S9_S9_S9_S6_lllllll.has_recursion, 0
	.set _ZN2at6native12_GLOBAL__N_131cdist_backward_kernel_cuda_implIdNS1_5distsIdE3oneEEEvPT_PKS6_S9_S9_S9_S6_lllllll.has_indirect_call, 0
	.section	.AMDGPU.csdata,"",@progbits
; Kernel info:
; codeLenInByte = 2288
; TotalNumSgprs: 50
; NumVgprs: 24
; NumAgprs: 0
; TotalNumVgprs: 24
; ScratchSize: 0
; MemoryBound: 0
; FloatMode: 240
; IeeeMode: 1
; LDSByteSize: 0 bytes/workgroup (compile time only)
; SGPRBlocks: 6
; VGPRBlocks: 2
; NumSGPRsForWavesPerEU: 50
; NumVGPRsForWavesPerEU: 24
; AccumOffset: 24
; Occupancy: 8
; WaveLimiterHint : 0
; COMPUTE_PGM_RSRC2:SCRATCH_EN: 0
; COMPUTE_PGM_RSRC2:USER_SGPR: 2
; COMPUTE_PGM_RSRC2:TRAP_HANDLER: 0
; COMPUTE_PGM_RSRC2:TGID_X_EN: 1
; COMPUTE_PGM_RSRC2:TGID_Y_EN: 1
; COMPUTE_PGM_RSRC2:TGID_Z_EN: 1
; COMPUTE_PGM_RSRC2:TIDIG_COMP_CNT: 1
; COMPUTE_PGM_RSRC3_GFX90A:ACCUM_OFFSET: 5
; COMPUTE_PGM_RSRC3_GFX90A:TG_SPLIT: 0
	.section	.text._ZN2at6native12_GLOBAL__N_131cdist_backward_kernel_cuda_implIdNS1_5distsIdE6lt_twoEEEvPT_PKS6_S9_S9_S9_S6_lllllll,"axG",@progbits,_ZN2at6native12_GLOBAL__N_131cdist_backward_kernel_cuda_implIdNS1_5distsIdE6lt_twoEEEvPT_PKS6_S9_S9_S9_S6_lllllll,comdat
	.globl	_ZN2at6native12_GLOBAL__N_131cdist_backward_kernel_cuda_implIdNS1_5distsIdE6lt_twoEEEvPT_PKS6_S9_S9_S9_S6_lllllll ; -- Begin function _ZN2at6native12_GLOBAL__N_131cdist_backward_kernel_cuda_implIdNS1_5distsIdE6lt_twoEEEvPT_PKS6_S9_S9_S9_S6_lllllll
	.p2align	8
	.type	_ZN2at6native12_GLOBAL__N_131cdist_backward_kernel_cuda_implIdNS1_5distsIdE6lt_twoEEEvPT_PKS6_S9_S9_S9_S6_lllllll,@function
_ZN2at6native12_GLOBAL__N_131cdist_backward_kernel_cuda_implIdNS1_5distsIdE6lt_twoEEEvPT_PKS6_S9_S9_S9_S6_lllllll: ; @_ZN2at6native12_GLOBAL__N_131cdist_backward_kernel_cuda_implIdNS1_5distsIdE6lt_twoEEEvPT_PKS6_S9_S9_S9_S6_lllllll
; %bb.0:
	s_load_dwordx2 s[6:7], s[0:1], 0x70
	s_load_dwordx8 s[20:27], s[0:1], 0x40
	s_add_u32 s28, s0, 0x68
	s_addc_u32 s29, s1, 0
	v_bfe_u32 v1, v0, 10, 10
	s_waitcnt lgkmcnt(0)
	s_mul_i32 s3, s6, s3
	s_add_i32 s3, s3, s4
	s_lshr_b32 s4, s7, 16
	s_mul_i32 s3, s3, s4
	v_add_u32_e32 v2, s3, v1
	v_ashrrev_i32_e32 v3, 31, v2
	v_cmp_gt_i64_e32 vcc, s[22:23], v[2:3]
	s_and_saveexec_b64 s[4:5], vcc
	s_cbranch_execz .LBB32_14
; %bb.1:
	s_load_dwordx2 s[22:23], s[0:1], 0x60
	s_and_b32 s33, s7, 0xffff
	s_mul_i32 s2, s2, s33
	v_and_b32_e32 v0, 0x3ff, v0
	v_add_u32_e32 v0, s2, v0
	v_ashrrev_i32_e32 v1, 31, v0
	v_cmp_gt_i64_e32 vcc, s[20:21], v[0:1]
	s_and_b64 exec, exec, vcc
	s_cbranch_execz .LBB32_14
; %bb.2:
	v_or_b32_e32 v7, s25, v3
	v_mov_b32_e32 v6, 0
	v_cmp_ne_u64_e32 vcc, 0, v[6:7]
                                        ; implicit-def: $vgpr4_vgpr5
	s_and_saveexec_b64 s[2:3], vcc
	s_xor_b64 s[4:5], exec, s[2:3]
	s_cbranch_execz .LBB32_4
; %bb.3:
	s_ashr_i32 s6, s25, 31
	s_add_u32 s2, s24, s6
	s_mov_b32 s7, s6
	s_addc_u32 s3, s25, s6
	s_xor_b64 s[8:9], s[2:3], s[6:7]
	v_cvt_f32_u32_e32 v4, s8
	v_cvt_f32_u32_e32 v5, s9
	s_sub_u32 s7, 0, s8
	s_subb_u32 s10, 0, s9
	v_mov_b32_e32 v11, v6
	v_fmamk_f32 v4, v5, 0x4f800000, v4
	v_rcp_f32_e32 v4, v4
	s_nop 0
	v_mul_f32_e32 v4, 0x5f7ffffc, v4
	v_mul_f32_e32 v5, 0x2f800000, v4
	v_trunc_f32_e32 v5, v5
	v_fmamk_f32 v4, v5, 0xcf800000, v4
	v_cvt_u32_f32_e32 v5, v5
	v_cvt_u32_f32_e32 v4, v4
	v_readfirstlane_b32 s11, v5
	v_readfirstlane_b32 s2, v4
	s_mul_i32 s3, s7, s11
	s_mul_hi_u32 s13, s7, s2
	s_mul_i32 s12, s10, s2
	s_add_i32 s3, s13, s3
	s_add_i32 s3, s3, s12
	s_mul_i32 s14, s7, s2
	s_mul_i32 s13, s2, s3
	s_mul_hi_u32 s15, s2, s14
	s_mul_hi_u32 s12, s2, s3
	s_add_u32 s13, s15, s13
	s_addc_u32 s12, 0, s12
	s_mul_hi_u32 s16, s11, s14
	s_mul_i32 s14, s11, s14
	s_add_u32 s13, s13, s14
	s_mul_hi_u32 s15, s11, s3
	s_addc_u32 s12, s12, s16
	s_addc_u32 s13, s15, 0
	s_mul_i32 s3, s11, s3
	s_add_u32 s3, s12, s3
	s_addc_u32 s12, 0, s13
	s_add_u32 s13, s2, s3
	s_cselect_b64 s[2:3], -1, 0
	s_cmp_lg_u64 s[2:3], 0
	s_addc_u32 s11, s11, s12
	s_mul_i32 s2, s7, s11
	s_mul_hi_u32 s3, s7, s13
	s_add_i32 s2, s3, s2
	s_mul_i32 s10, s10, s13
	s_add_i32 s2, s2, s10
	s_mul_i32 s7, s7, s13
	s_mul_hi_u32 s10, s11, s7
	s_mul_i32 s12, s11, s7
	s_mul_i32 s15, s13, s2
	s_mul_hi_u32 s7, s13, s7
	s_mul_hi_u32 s14, s13, s2
	s_add_u32 s7, s7, s15
	s_addc_u32 s14, 0, s14
	s_add_u32 s7, s7, s12
	s_mul_hi_u32 s3, s11, s2
	s_addc_u32 s7, s14, s10
	s_addc_u32 s3, s3, 0
	s_mul_i32 s2, s11, s2
	s_add_u32 s2, s7, s2
	s_addc_u32 s7, 0, s3
	s_add_u32 s10, s13, s2
	v_ashrrev_i32_e32 v4, 31, v3
	s_cselect_b64 s[2:3], -1, 0
	v_mov_b32_e32 v5, v4
	s_cmp_lg_u64 s[2:3], 0
	v_lshl_add_u64 v[8:9], v[2:3], 0, v[4:5]
	s_addc_u32 s7, s11, s7
	v_xor_b32_e32 v14, v8, v4
	v_xor_b32_e32 v5, v9, v4
	v_mad_u64_u32 v[8:9], s[2:3], v14, s7, 0
	v_mul_hi_u32 v10, v14, s10
	v_lshl_add_u64 v[8:9], v[10:11], 0, v[8:9]
	v_mad_u64_u32 v[12:13], s[2:3], v5, s10, 0
	v_add_co_u32_e32 v7, vcc, v8, v12
	v_mad_u64_u32 v[10:11], s[2:3], v5, s7, 0
	s_nop 0
	v_addc_co_u32_e32 v8, vcc, v9, v13, vcc
	v_mov_b32_e32 v9, v6
	s_nop 0
	v_addc_co_u32_e32 v11, vcc, 0, v11, vcc
	v_lshl_add_u64 v[6:7], v[8:9], 0, v[10:11]
	v_mul_lo_u32 v10, s9, v6
	v_mul_lo_u32 v11, s8, v7
	v_mad_u64_u32 v[8:9], s[2:3], s8, v6, 0
	v_add3_u32 v12, v9, v11, v10
	v_sub_u32_e32 v9, v5, v12
	v_mov_b32_e32 v10, s9
	v_sub_co_u32_e32 v13, vcc, v14, v8
	s_nop 1
	v_subb_co_u32_e64 v8, s[2:3], v9, v10, vcc
	v_subrev_co_u32_e64 v9, s[2:3], s8, v13
	v_subb_co_u32_e32 v5, vcc, v5, v12, vcc
	s_nop 0
	v_subbrev_co_u32_e64 v8, s[2:3], 0, v8, s[2:3]
	v_cmp_le_u32_e64 s[2:3], s9, v8
	v_cmp_le_u32_e32 vcc, s9, v5
	s_nop 0
	v_cndmask_b32_e64 v10, 0, -1, s[2:3]
	v_cmp_le_u32_e64 s[2:3], s8, v9
	s_nop 1
	v_cndmask_b32_e64 v9, 0, -1, s[2:3]
	v_cmp_eq_u32_e64 s[2:3], s9, v8
	s_nop 1
	v_cndmask_b32_e64 v14, v10, v9, s[2:3]
	v_lshl_add_u64 v[8:9], v[6:7], 0, 2
	v_lshl_add_u64 v[10:11], v[6:7], 0, 1
	v_cmp_ne_u32_e64 s[2:3], 0, v14
	s_nop 1
	v_cndmask_b32_e64 v9, v11, v9, s[2:3]
	v_cndmask_b32_e64 v11, 0, -1, vcc
	v_cmp_le_u32_e32 vcc, s8, v13
	s_nop 1
	v_cndmask_b32_e64 v12, 0, -1, vcc
	v_cmp_eq_u32_e32 vcc, s9, v5
	s_nop 1
	v_cndmask_b32_e32 v5, v11, v12, vcc
	v_cmp_ne_u32_e32 vcc, 0, v5
	s_nop 1
	v_cndmask_b32_e32 v5, v7, v9, vcc
	v_cndmask_b32_e64 v7, v10, v8, s[2:3]
	v_cndmask_b32_e32 v6, v6, v7, vcc
	v_xor_b32_e32 v7, s6, v4
	v_xor_b32_e32 v4, v6, v7
	;; [unrolled: 1-line block ×3, first 2 shown]
	v_sub_co_u32_e32 v4, vcc, v4, v7
	s_nop 1
	v_subb_co_u32_e32 v5, vcc, v5, v7, vcc
.LBB32_4:
	s_andn2_saveexec_b64 s[2:3], s[4:5]
	s_cbranch_execz .LBB32_6
; %bb.5:
	v_cvt_f32_u32_e32 v4, s24
	s_sub_i32 s4, 0, s24
	v_rcp_iflag_f32_e32 v4, v4
	s_nop 0
	v_mul_f32_e32 v4, 0x4f7ffffe, v4
	v_cvt_u32_f32_e32 v4, v4
	v_mul_lo_u32 v5, s4, v4
	v_mul_hi_u32 v5, v4, v5
	v_add_u32_e32 v4, v4, v5
	v_mul_hi_u32 v4, v2, v4
	v_mul_lo_u32 v5, v4, s24
	v_sub_u32_e32 v5, v2, v5
	v_add_u32_e32 v6, 1, v4
	v_subrev_u32_e32 v7, s24, v5
	v_cmp_le_u32_e32 vcc, s24, v5
	s_nop 1
	v_cndmask_b32_e32 v5, v5, v7, vcc
	v_cndmask_b32_e32 v4, v4, v6, vcc
	v_add_u32_e32 v6, 1, v4
	v_cmp_le_u32_e32 vcc, s24, v5
	v_mov_b32_e32 v5, 0
	s_nop 0
	v_cndmask_b32_e32 v4, v4, v6, vcc
.LBB32_6:
	s_or_b64 exec, exec, s[2:3]
	s_load_dwordx16 s[4:19], s[0:1], 0x0
	v_mul_lo_u32 v5, v5, s24
	v_mul_lo_u32 v8, v4, s25
	v_mad_u64_u32 v[6:7], s[0:1], v4, s24, 0
	v_add3_u32 v5, v7, v8, v5
	v_sub_co_u32_e32 v10, vcc, v2, v6
	v_mov_b32_e32 v8, 0
	s_nop 0
	v_subb_co_u32_e32 v11, vcc, v3, v5, vcc
	s_waitcnt lgkmcnt(0)
	v_or_b32_e32 v9, s19, v11
	v_cmp_ne_u64_e32 vcc, 0, v[8:9]
                                        ; implicit-def: $vgpr12_vgpr13
	s_and_saveexec_b64 s[0:1], vcc
	s_xor_b64 s[2:3], exec, s[0:1]
	s_cbranch_execz .LBB32_8
; %bb.7:
	s_ashr_i32 s24, s19, 31
	s_add_u32 s0, s18, s24
	s_mov_b32 s25, s24
	s_addc_u32 s1, s19, s24
	s_xor_b64 s[30:31], s[0:1], s[24:25]
	v_cvt_f32_u32_e32 v5, s30
	v_cvt_f32_u32_e32 v7, s31
	s_sub_u32 s25, 0, s30
	s_subb_u32 s34, 0, s31
	v_ashrrev_i32_e32 v12, 31, v11
	v_fmamk_f32 v5, v7, 0x4f800000, v5
	v_rcp_f32_e32 v5, v5
	v_mov_b32_e32 v13, v12
	v_lshl_add_u64 v[14:15], v[10:11], 0, v[12:13]
	v_mov_b32_e32 v17, v8
	v_mul_f32_e32 v5, 0x5f7ffffc, v5
	v_mul_f32_e32 v7, 0x2f800000, v5
	v_trunc_f32_e32 v7, v7
	v_fmamk_f32 v5, v7, 0xcf800000, v5
	v_cvt_u32_f32_e32 v7, v7
	v_cvt_u32_f32_e32 v5, v5
	v_readfirstlane_b32 s35, v7
	v_readfirstlane_b32 s0, v5
	s_mul_i32 s1, s25, s35
	s_mul_hi_u32 s37, s25, s0
	s_mul_i32 s36, s34, s0
	s_add_i32 s1, s37, s1
	s_add_i32 s1, s1, s36
	s_mul_i32 s38, s25, s0
	s_mul_i32 s37, s0, s1
	s_mul_hi_u32 s39, s0, s38
	s_mul_hi_u32 s36, s0, s1
	s_add_u32 s37, s39, s37
	s_addc_u32 s36, 0, s36
	s_mul_hi_u32 s40, s35, s38
	s_mul_i32 s38, s35, s38
	s_add_u32 s37, s37, s38
	s_mul_hi_u32 s39, s35, s1
	s_addc_u32 s36, s36, s40
	s_addc_u32 s37, s39, 0
	s_mul_i32 s1, s35, s1
	s_add_u32 s1, s36, s1
	s_addc_u32 s36, 0, s37
	s_add_u32 s37, s0, s1
	s_cselect_b64 s[0:1], -1, 0
	s_cmp_lg_u64 s[0:1], 0
	s_addc_u32 s35, s35, s36
	s_mul_i32 s0, s25, s35
	s_mul_hi_u32 s1, s25, s37
	s_add_i32 s0, s1, s0
	s_mul_i32 s34, s34, s37
	s_add_i32 s0, s0, s34
	s_mul_i32 s25, s25, s37
	s_mul_hi_u32 s34, s35, s25
	s_mul_i32 s36, s35, s25
	s_mul_i32 s39, s37, s0
	s_mul_hi_u32 s25, s37, s25
	s_mul_hi_u32 s38, s37, s0
	s_add_u32 s25, s25, s39
	s_addc_u32 s38, 0, s38
	s_add_u32 s25, s25, s36
	s_mul_hi_u32 s1, s35, s0
	s_addc_u32 s25, s38, s34
	s_addc_u32 s1, s1, 0
	s_mul_i32 s0, s35, s0
	s_add_u32 s0, s25, s0
	s_addc_u32 s25, 0, s1
	s_add_u32 s34, s37, s0
	s_cselect_b64 s[0:1], -1, 0
	s_cmp_lg_u64 s[0:1], 0
	s_addc_u32 s25, s35, s25
	v_xor_b32_e32 v7, v14, v12
	v_xor_b32_e32 v5, v15, v12
	v_mad_u64_u32 v[14:15], s[0:1], v7, s25, 0
	v_mul_hi_u32 v16, v7, s34
	v_lshl_add_u64 v[14:15], v[16:17], 0, v[14:15]
	v_mad_u64_u32 v[18:19], s[0:1], v5, s34, 0
	v_add_co_u32_e32 v9, vcc, v14, v18
	v_mad_u64_u32 v[16:17], s[0:1], v5, s25, 0
	s_nop 0
	v_addc_co_u32_e32 v14, vcc, v15, v19, vcc
	v_mov_b32_e32 v15, v8
	s_nop 0
	v_addc_co_u32_e32 v17, vcc, 0, v17, vcc
	v_lshl_add_u64 v[8:9], v[14:15], 0, v[16:17]
	v_mul_lo_u32 v13, s31, v8
	v_mul_lo_u32 v16, s30, v9
	v_mad_u64_u32 v[14:15], s[0:1], s30, v8, 0
	v_add3_u32 v13, v15, v16, v13
	v_sub_u32_e32 v15, v5, v13
	v_mov_b32_e32 v16, s31
	v_sub_co_u32_e32 v7, vcc, v7, v14
	s_nop 1
	v_subb_co_u32_e64 v14, s[0:1], v15, v16, vcc
	v_subrev_co_u32_e64 v15, s[0:1], s30, v7
	v_subb_co_u32_e32 v5, vcc, v5, v13, vcc
	s_nop 0
	v_subbrev_co_u32_e64 v14, s[0:1], 0, v14, s[0:1]
	v_cmp_le_u32_e64 s[0:1], s31, v14
	v_cmp_le_u32_e32 vcc, s31, v5
	s_nop 0
	v_cndmask_b32_e64 v16, 0, -1, s[0:1]
	v_cmp_le_u32_e64 s[0:1], s30, v15
	v_cndmask_b32_e64 v13, 0, -1, vcc
	v_cmp_le_u32_e32 vcc, s30, v7
	v_cndmask_b32_e64 v15, 0, -1, s[0:1]
	v_cmp_eq_u32_e64 s[0:1], s31, v14
	v_cndmask_b32_e64 v7, 0, -1, vcc
	v_cmp_eq_u32_e32 vcc, s31, v5
	v_cndmask_b32_e64 v18, v16, v15, s[0:1]
	v_lshl_add_u64 v[14:15], v[8:9], 0, 2
	v_lshl_add_u64 v[16:17], v[8:9], 0, 1
	v_cmp_ne_u32_e64 s[0:1], 0, v18
	v_cndmask_b32_e32 v5, v13, v7, vcc
	v_cmp_ne_u32_e32 vcc, 0, v5
	v_cndmask_b32_e64 v7, v16, v14, s[0:1]
	v_cndmask_b32_e64 v15, v17, v15, s[0:1]
	v_cndmask_b32_e32 v7, v8, v7, vcc
	v_xor_b32_e32 v8, s24, v12
	v_cndmask_b32_e32 v5, v9, v15, vcc
	v_xor_b32_e32 v7, v7, v8
	v_xor_b32_e32 v5, v5, v8
	v_sub_co_u32_e32 v12, vcc, v7, v8
	s_nop 1
	v_subb_co_u32_e32 v13, vcc, v5, v8, vcc
.LBB32_8:
	s_or_saveexec_b64 s[0:1], s[2:3]
	s_load_dword s38, s[28:29], 0x0
	s_xor_b64 exec, exec, s[0:1]
	s_cbranch_execz .LBB32_10
; %bb.9:
	v_cvt_f32_u32_e32 v5, s18
	s_sub_i32 s2, 0, s18
	v_mov_b32_e32 v13, 0
	v_rcp_iflag_f32_e32 v5, v5
	s_nop 0
	v_mul_f32_e32 v5, 0x4f7ffffe, v5
	v_cvt_u32_f32_e32 v5, v5
	v_mul_lo_u32 v7, s2, v5
	v_mul_hi_u32 v7, v5, v7
	v_add_u32_e32 v5, v5, v7
	v_mul_hi_u32 v5, v10, v5
	v_mul_lo_u32 v7, v5, s18
	v_sub_u32_e32 v7, v10, v7
	v_add_u32_e32 v8, 1, v5
	v_subrev_u32_e32 v9, s18, v7
	v_cmp_le_u32_e32 vcc, s18, v7
	s_nop 1
	v_cndmask_b32_e32 v7, v7, v9, vcc
	v_cndmask_b32_e32 v5, v5, v8, vcc
	v_add_u32_e32 v8, 1, v5
	v_cmp_le_u32_e32 vcc, s18, v7
	s_nop 1
	v_cndmask_b32_e32 v12, v5, v8, vcc
.LBB32_10:
	s_or_b64 exec, exec, s[0:1]
	v_lshlrev_b64 v[36:37], 3, v[2:3]
	v_lshl_add_u64 v[2:3], s[12:13], 0, v[36:37]
	global_load_dwordx2 v[16:17], v[2:3], off
	v_ashrrev_i32_e32 v9, 31, v4
	v_mul_lo_u32 v32, v13, s18
	v_mul_lo_u32 v33, v12, s19
	v_mad_u64_u32 v[26:27], s[0:1], v12, s18, 0
	v_mul_lo_u32 v34, v4, s27
	v_mad_u64_u32 v[20:21], s[0:1], v4, s26, 0
	v_mul_lo_u32 v38, v9, s26
	v_add3_u32 v27, v27, v33, v32
	v_sub_co_u32_e32 v10, vcc, v10, v26
	v_add3_u32 v21, v21, v34, v38
	s_nop 0
	v_subb_co_u32_e32 v34, vcc, v11, v27, vcc
	v_add_f64 v[2:3], s[14:15], -1.0
	v_mov_b32_e32 v58, 0x3ff00000
	v_mov_b32_e32 v14, s8
	;; [unrolled: 1-line block ×3, first 2 shown]
	v_mul_lo_u32 v30, v13, s20
	v_mul_lo_u32 v31, v12, s21
	v_mad_u64_u32 v[22:23], s[0:1], v12, s20, 0
	v_mul_lo_u32 v35, v4, s23
	v_mad_u64_u32 v[28:29], s[0:1], v4, s22, 0
	;; [unrolled: 2-line block ×3, first 2 shown]
	s_mov_b32 s8, 0x55555555
	v_mul_lo_u32 v38, v10, s17
	v_add3_u32 v29, v29, v35, v9
	v_mul_lo_u32 v9, v10, s21
	v_mad_u64_u32 v[26:27], s[0:1], v10, s20, 0
	v_lshl_add_u64 v[10:11], v[20:21], 3, v[14:15]
	v_mad_u64_u32 v[14:15], s[0:1], v12, s20, 0
	v_mov_b32_e32 v18, s10
	v_mov_b32_e32 v19, s11
	s_mov_b32 s9, 0x3fe55555
	v_mul_lo_u32 v20, v34, s16
	v_mul_lo_u32 v21, v12, s21
	;; [unrolled: 1-line block ×3, first 2 shown]
	v_lshl_add_u64 v[18:19], v[28:29], 3, v[18:19]
	v_add3_u32 v13, v20, v13, v38
	v_add3_u32 v27, v27, v9, v12
	v_mul_lo_u32 v9, v13, s20
	v_lshl_add_u64 v[12:13], v[26:27], 3, v[18:19]
	v_mul_lo_u32 v25, s20, v6
	v_mov_b32_e32 v24, 0
	v_add3_u32 v15, v15, v21, v9
	v_ashrrev_i64 v[24:25], 29, v[24:25]
	v_lshl_add_u64 v[24:25], s[4:5], 0, v[24:25]
	v_add3_u32 v23, v23, v31, v30
	v_lshl_add_u64 v[14:15], v[14:15], 3, v[24:25]
	v_lshl_add_u64 v[10:11], v[22:23], 3, v[10:11]
	v_mov_b32_e32 v4, 0x968915a9
	v_mov_b32_e32 v5, 0x3fba6564
	s_mov_b32 s10, 0x4222de17
	s_mov_b32 s11, 0x3fbdee67
	v_mov_b32_e32 v6, 0x3abe935a
	v_mov_b32_e32 v7, 0x3fbe25e4
	v_mov_b64_e32 v[30:31], v[4:5]
	v_mov_b32_e32 v8, 0x47e6c9c2
	v_mov_b64_e32 v[32:33], v[6:7]
	s_mov_b32 s12, 0xfefa39ef
	s_mov_b32 s13, 0x3fe62e42
	;; [unrolled: 1-line block ×4, first 2 shown]
	v_lshl_add_u64 v[36:37], s[6:7], 0, v[36:37]
	global_load_dwordx2 v[36:37], v[36:37], off
	s_mov_b32 s19, 0xbfe55555
	s_mov_b32 s18, s8
	;; [unrolled: 1-line block ×4, first 2 shown]
	s_movk_i32 s42, 0x204
	s_mov_b32 s26, 0x652b82fe
	s_mov_b32 s27, 0x3ff71547
	s_waitcnt vmcnt(1)
	v_cmp_neq_f64_e32 vcc, 1.0, v[16:17]
	v_cmp_eq_f64_e64 s[0:1], 0, v[16:17]
	s_mov_b32 s24, 0
	v_cndmask_b32_e32 v51, v58, v3, vcc
	v_cndmask_b32_e32 v50, 0, v2, vcc
	v_cmp_neq_f64_e32 vcc, 0, v[50:51]
	s_mov_b32 s25, 0x7ff00000
	s_mov_b32 s29, 0xbfe62e42
	v_cndmask_b32_e32 v53, v58, v17, vcc
	v_cndmask_b32_e32 v52, 0, v16, vcc
	v_frexp_mant_f64_e64 v[16:17], |v[52:53]|
	v_cmp_gt_f64_e32 vcc, s[8:9], v[16:17]
	v_frexp_exp_i32_f64_e32 v9, v[52:53]
	s_mov_b32 s28, s12
	v_cndmask_b32_e64 v18, 0, 1, vcc
	v_ldexp_f64 v[16:17], v[16:17], v18
	v_add_f64 v[18:19], v[16:17], 1.0
	v_rcp_f64_e32 v[20:21], v[18:19]
	v_add_f64 v[24:25], v[18:19], -1.0
	v_add_f64 v[22:23], v[16:17], -1.0
	v_add_f64 v[16:17], v[16:17], -v[24:25]
	v_fma_f64 v[24:25], -v[18:19], v[20:21], 1.0
	v_fmac_f64_e32 v[20:21], v[24:25], v[20:21]
	v_fma_f64 v[24:25], -v[18:19], v[20:21], 1.0
	v_fmac_f64_e32 v[20:21], v[24:25], v[20:21]
	v_mul_f64 v[24:25], v[22:23], v[20:21]
	v_mul_f64 v[26:27], v[18:19], v[24:25]
	v_fma_f64 v[18:19], v[24:25], v[18:19], -v[26:27]
	v_fmac_f64_e32 v[18:19], v[24:25], v[16:17]
	v_add_f64 v[16:17], v[26:27], v[18:19]
	v_add_f64 v[28:29], v[22:23], -v[16:17]
	v_add_f64 v[26:27], v[16:17], -v[26:27]
	;; [unrolled: 1-line block ×5, first 2 shown]
	v_add_f64 v[16:17], v[18:19], v[16:17]
	v_add_f64 v[16:17], v[28:29], v[16:17]
	v_mul_f64 v[16:17], v[20:21], v[16:17]
	v_add_f64 v[26:27], v[24:25], v[16:17]
	v_add_f64 v[18:19], v[26:27], -v[24:25]
	v_mul_f64 v[20:21], v[26:27], v[26:27]
	v_add_f64 v[28:29], v[16:17], -v[18:19]
	v_fma_f64 v[16:17], v[26:27], v[26:27], -v[20:21]
	v_add_f64 v[18:19], v[28:29], v[28:29]
	v_fmac_f64_e32 v[16:17], v[26:27], v[18:19]
	v_add_f64 v[34:35], v[20:21], v[16:17]
	v_subbrev_co_u32_e32 v40, vcc, 0, v9, vcc
	v_add_f64 v[18:19], v[34:35], -v[20:21]
	v_fmac_f64_e32 v[30:31], s[10:11], v[34:35]
	v_mov_b32_e32 v9, 0x3fc110ef
	v_add_f64 v[38:39], v[16:17], -v[18:19]
	v_fmac_f64_e32 v[32:33], v[34:35], v[30:31]
	v_mov_b64_e32 v[18:19], v[8:9]
	v_mov_b32_e32 v16, 0xcfa74449
	v_mov_b32_e32 v17, 0x3fc3b13b
	v_fmac_f64_e32 v[18:19], v[34:35], v[32:33]
	v_mov_b64_e32 v[20:21], v[16:17]
	v_fmac_f64_e32 v[20:21], v[34:35], v[18:19]
	v_mov_b32_e32 v18, 0x71bf3c30
	v_mov_b32_e32 v19, 0x3fc745d1
	v_mov_b64_e32 v[22:23], v[18:19]
	v_fmac_f64_e32 v[22:23], v[34:35], v[20:21]
	v_mov_b32_e32 v20, 0x1c7792ce
	v_mov_b32_e32 v21, 0x3fcc71c7
	;; [unrolled: 4-line block ×4, first 2 shown]
	v_mov_b64_e32 v[32:33], v[24:25]
	v_fmac_f64_e32 v[32:33], v[34:35], v[30:31]
	v_cvt_f64_i32_e32 v[30:31], v40
	v_mul_f64 v[40:41], v[30:31], s[12:13]
	v_fma_f64 v[42:43], v[30:31], s[12:13], -v[40:41]
	v_mul_f64 v[46:47], v[26:27], v[34:35]
	v_fmac_f64_e32 v[42:43], s[16:17], v[30:31]
	v_fma_f64 v[48:49], v[34:35], v[26:27], -v[46:47]
	v_add_f64 v[30:31], v[40:41], v[42:43]
	v_fmac_f64_e32 v[48:49], v[34:35], v[28:29]
	v_add_f64 v[40:41], v[30:31], -v[40:41]
	v_fmac_f64_e32 v[48:49], v[38:39], v[26:27]
	v_add_f64 v[40:41], v[42:43], -v[40:41]
	v_ldexp_f64 v[42:43], v[26:27], 1
	v_add_f64 v[26:27], v[46:47], v[48:49]
	v_ldexp_f64 v[44:45], v[28:29], 1
	v_add_f64 v[28:29], v[26:27], -v[46:47]
	v_mul_f64 v[46:47], v[34:35], v[32:33]
	v_fma_f64 v[34:35], v[34:35], v[32:33], -v[46:47]
	v_fmac_f64_e32 v[34:35], v[38:39], v[32:33]
	v_add_f64 v[32:33], v[46:47], v[34:35]
	v_add_f64 v[38:39], v[32:33], -v[46:47]
	v_add_f64 v[34:35], v[34:35], -v[38:39]
	v_add_f64 v[38:39], v[32:33], s[8:9]
	v_add_f64 v[46:47], v[38:39], s[18:19]
	v_add_f64 v[32:33], v[32:33], -v[46:47]
	v_add_f64 v[34:35], v[34:35], s[22:23]
	v_add_f64 v[32:33], v[34:35], v[32:33]
	;; [unrolled: 1-line block ×3, first 2 shown]
	v_add_f64 v[38:39], v[38:39], -v[34:35]
	v_add_f64 v[32:33], v[32:33], v[38:39]
	v_mul_f64 v[38:39], v[26:27], v[34:35]
	v_fma_f64 v[46:47], v[26:27], v[34:35], -v[38:39]
	v_add_f64 v[28:29], v[48:49], -v[28:29]
	v_fmac_f64_e32 v[46:47], v[26:27], v[32:33]
	v_fmac_f64_e32 v[46:47], v[28:29], v[34:35]
	v_add_f64 v[26:27], v[38:39], v[46:47]
	v_add_f64 v[28:29], v[26:27], -v[38:39]
	v_add_f64 v[32:33], v[42:43], v[26:27]
	v_add_f64 v[28:29], v[46:47], -v[28:29]
	v_add_f64 v[34:35], v[32:33], -v[42:43]
	v_add_f64 v[26:27], v[26:27], -v[34:35]
	v_add_f64 v[28:29], v[44:45], v[28:29]
	v_add_f64 v[26:27], v[28:29], v[26:27]
	;; [unrolled: 1-line block ×3, first 2 shown]
	v_add_f64 v[32:33], v[28:29], -v[32:33]
	v_add_f64 v[26:27], v[26:27], -v[32:33]
	v_add_f64 v[32:33], v[30:31], v[28:29]
	v_add_f64 v[34:35], v[32:33], -v[30:31]
	v_add_f64 v[38:39], v[32:33], -v[34:35]
	;; [unrolled: 1-line block ×4, first 2 shown]
	v_add_f64 v[28:29], v[28:29], v[30:31]
	v_add_f64 v[30:31], v[40:41], v[26:27]
	v_add_f64 v[34:35], v[30:31], -v[40:41]
	v_add_f64 v[28:29], v[30:31], v[28:29]
	v_add_f64 v[38:39], v[30:31], -v[34:35]
	;; [unrolled: 2-line block ×3, first 2 shown]
	v_add_f64 v[26:27], v[26:27], -v[34:35]
	v_add_f64 v[32:33], v[30:31], -v[32:33]
	v_add_f64 v[26:27], v[26:27], v[38:39]
	v_add_f64 v[28:29], v[28:29], -v[32:33]
	v_add_f64 v[26:27], v[26:27], v[28:29]
	v_add_f64 v[28:29], v[30:31], v[26:27]
	v_add_f64 v[30:31], v[28:29], -v[30:31]
	v_add_f64 v[26:27], v[26:27], -v[30:31]
	v_mul_f64 v[30:31], v[50:51], v[28:29]
	v_fma_f64 v[28:29], v[50:51], v[28:29], -v[30:31]
	v_fmac_f64_e32 v[28:29], v[50:51], v[26:27]
	v_add_f64 v[26:27], v[30:31], v[28:29]
	v_cmp_class_f64_e64 vcc, v[30:31], s42
	v_add_f64 v[32:33], v[26:27], -v[30:31]
	v_add_f64 v[28:29], v[28:29], -v[32:33]
	v_cndmask_b32_e32 v49, v27, v31, vcc
	v_cndmask_b32_e32 v48, v26, v30, vcc
	v_mul_f64 v[26:27], v[48:49], s[26:27]
	v_rndne_f64_e32 v[46:47], v[26:27]
	v_cmp_neq_f64_e64 vcc, |v[48:49]|, s[24:25]
	v_fma_f64 v[56:57], s[28:29], v[46:47], v[48:49]
	s_mov_b32 s31, 0xbc7abc9e
	s_mov_b32 s30, s16
	v_mov_b32_e32 v26, 0xfca7ab0c
	v_mov_b32_e32 v27, 0x3e928af3
	s_mov_b32 s34, 0x6a5dcb37
	v_cndmask_b32_e32 v55, 0, v29, vcc
	v_cndmask_b32_e32 v54, 0, v28, vcc
	v_fmac_f64_e32 v[56:57], s[30:31], v[46:47]
	s_mov_b32 s35, 0x3e5ade15
	v_mov_b64_e32 v[30:31], v[26:27]
	v_mov_b32_e32 v28, 0x623fde64
	v_mov_b32_e32 v29, 0x3ec71dee
	v_fmac_f64_e32 v[30:31], s[34:35], v[56:57]
	v_mov_b64_e32 v[32:33], v[28:29]
	v_fmac_f64_e32 v[32:33], v[56:57], v[30:31]
	v_mov_b32_e32 v30, 0x7c89e6b0
	v_mov_b32_e32 v31, 0x3efa0199
	v_mov_b64_e32 v[34:35], v[30:31]
	v_fmac_f64_e32 v[34:35], v[56:57], v[32:33]
	v_mov_b32_e32 v32, 0x14761f6e
	v_mov_b32_e32 v33, 0x3f2a01a0
	;; [unrolled: 4-line block ×7, first 2 shown]
	v_mov_b64_e32 v[62:63], v[44:45]
	v_fmac_f64_e32 v[62:63], v[56:57], v[60:61]
	v_fma_f64 v[60:61], v[56:57], v[62:63], 1.0
	s_mov_b32 s6, 0
	s_mov_b32 s36, 0
	v_fma_f64 v[56:57], v[56:57], v[60:61], 1.0
	v_cvt_i32_f64_e32 v46, v[46:47]
	s_mov_b32 s7, 0x40900000
	s_mov_b32 s37, 0xc090cc00
	v_ldexp_f64 v[56:57], v[56:57], v46
	v_mov_b32_e32 v59, 0x7ff00000
	v_cmp_nlt_f64_e32 vcc, s[6:7], v[48:49]
	v_cmp_ngt_f64_e64 s[2:3], s[36:37], v[48:49]
	s_brev_b32 s18, -2
	v_cndmask_b32_e32 v57, v59, v57, vcc
	s_and_b64 vcc, s[2:3], vcc
	v_cndmask_b32_e64 v49, 0, v57, s[2:3]
	v_cndmask_b32_e32 v48, 0, v56, vcc
	v_mov_b64_e32 v[56:57], v[48:49]
	v_fmac_f64_e32 v[56:57], v[56:57], v[54:55]
	v_cmp_class_f64_e64 vcc, v[48:49], s42
	v_mov_b32_e32 v60, 0x7ff80000
	v_cmp_lt_f64_e64 s[4:5], |v[52:53]|, 1.0
	v_cndmask_b32_e32 v56, v56, v48, vcc
	v_cndmask_b32_e32 v57, v57, v49, vcc
	v_mul_f64 v[48:49], v[50:51], 0.5
	v_trunc_f64_e32 v[54:55], v[48:49]
	v_cmp_neq_f64_e32 vcc, v[54:55], v[48:49]
	v_trunc_f64_e32 v[48:49], v[50:51]
	v_cmp_eq_f64_e64 s[2:3], v[48:49], v[50:51]
	s_and_b64 vcc, s[2:3], vcc
	v_cndmask_b32_e32 v48, v58, v53, vcc
	v_bfi_b32 v48, s18, v57, v48
	v_cndmask_b32_e64 v49, v60, v48, s[2:3]
	v_cndmask_b32_e64 v54, 0, v56, s[2:3]
	v_cmp_gt_f64_e64 s[2:3], 0, v[52:53]
	v_lshlrev_b64 v[0:1], 3, v[0:1]
	v_lshl_add_u64 v[46:47], s[20:21], 3, v[10:11]
	v_cndmask_b32_e64 v54, v56, v54, s[2:3]
	v_cndmask_b32_e64 v48, v48, v49, s[2:3]
	v_cmp_neq_f64_e64 s[2:3], v[50:51], |v[50:51]|
	s_xor_b64 s[2:3], s[2:3], s[4:5]
	v_cmp_gt_f64_e64 s[4:5], 0, v[50:51]
	v_cndmask_b32_e64 v49, v59, 0, s[2:3]
	v_cmp_neq_f64_e64 s[2:3], |v[52:53]|, 1.0
	s_mov_b64 s[20:21], 0
	v_cmp_lt_f64_e64 s[14:15], s[14:15], 1.0
	v_cndmask_b32_e64 v49, v58, v49, s[2:3]
	v_cmp_class_f64_e64 s[2:3], v[50:51], s42
	s_nop 1
	v_cndmask_b32_e64 v55, v48, v49, s[2:3]
	v_cndmask_b32_e64 v48, v59, 0, s[4:5]
	v_cndmask_b32_e32 v49, 0, v53, vcc
	v_cmp_class_f64_e64 vcc, v[52:53], s42
	v_bfi_b32 v56, s18, v48, v49
	s_waitcnt lgkmcnt(0)
	s_mul_i32 s4, s38, s33
	s_or_b64 s[2:3], vcc, s[2:3]
	v_cndmask_b32_e32 v55, v55, v56, vcc
	v_cndmask_b32_e64 v54, v54, 0, s[2:3]
	v_cmp_o_f64_e32 vcc, v[52:53], v[50:51]
	s_ashr_i32 s5, s4, 31
	v_lshl_add_u64 v[48:49], v[10:11], 0, v[0:1]
	v_cndmask_b32_e32 v50, 0, v54, vcc
	v_cndmask_b32_e32 v51, v60, v55, vcc
	s_lshl_b64 s[38:39], s[4:5], 3
	s_branch .LBB32_12
.LBB32_11:                              ;   in Loop: Header=BB32_12 Depth=1
	s_or_b64 exec, exec, s[40:41]
	v_lshl_add_u64 v[48:49], s[4:5], 3, v[48:49]
	v_cmp_ge_u64_e32 vcc, v[48:49], v[46:47]
	v_lshl_add_u64 v[54:55], v[14:15], 0, v[0:1]
	s_or_b64 s[20:21], vcc, s[20:21]
	v_lshl_add_u64 v[0:1], v[0:1], 0, s[38:39]
	global_store_dwordx2 v[54:55], v[52:53], off
	s_andn2_b64 exec, exec, s[20:21]
	s_cbranch_execz .LBB32_14
.LBB32_12:                              ; =>This Inner Loop Header: Depth=1
	v_lshl_add_u64 v[54:55], v[10:11], 0, v[0:1]
	v_lshl_add_u64 v[52:53], v[12:13], 0, v[0:1]
	global_load_dwordx2 v[56:57], v[54:55], off
	global_load_dwordx2 v[62:63], v[52:53], off
	v_mov_b64_e32 v[52:53], 0
	s_waitcnt vmcnt(0)
	v_add_f64 v[56:57], v[56:57], -v[62:63]
	v_cmp_eq_f64_e32 vcc, 0, v[56:57]
	s_and_b64 s[2:3], s[14:15], vcc
	s_nor_b64 s[2:3], s[0:1], s[2:3]
	s_and_saveexec_b64 s[40:41], s[2:3]
	s_cbranch_execz .LBB32_11
; %bb.13:                               ;   in Loop: Header=BB32_12 Depth=1
	v_cmp_neq_f64_e64 vcc, |v[56:57]|, 1.0
	s_mov_b32 s18, s8
	s_mov_b32 s28, s12
	v_cndmask_b32_e32 v53, v58, v3, vcc
	v_cndmask_b32_e32 v52, 0, v2, vcc
	v_cmp_neq_f64_e32 vcc, 0, v[52:53]
	s_mov_b32 s30, s16
	s_nop 0
	v_cndmask_b32_e32 v55, v58, v57, vcc
	v_cndmask_b32_e32 v54, 0, v56, vcc
	v_frexp_mant_f64_e64 v[62:63], |v[54:55]|
	v_cmp_gt_f64_e32 vcc, s[8:9], v[62:63]
	v_cmp_lt_f64_e64 s[44:45], |v[54:55]|, 1.0
	v_cmp_eq_f64_e64 s[46:47], |v[54:55]|, 0
	v_cndmask_b32_e64 v61, 0, 1, vcc
	v_ldexp_f64 v[62:63], v[62:63], v61
	v_add_f64 v[64:65], v[62:63], 1.0
	v_rcp_f64_e32 v[66:67], v[64:65]
	v_add_f64 v[70:71], v[64:65], -1.0
	v_add_f64 v[68:69], v[62:63], -1.0
	v_add_f64 v[62:63], v[62:63], -v[70:71]
	v_fma_f64 v[70:71], -v[64:65], v[66:67], 1.0
	v_fmac_f64_e32 v[66:67], v[70:71], v[66:67]
	v_fma_f64 v[70:71], -v[64:65], v[66:67], 1.0
	v_fmac_f64_e32 v[66:67], v[70:71], v[66:67]
	v_mul_f64 v[70:71], v[68:69], v[66:67]
	v_mul_f64 v[72:73], v[64:65], v[70:71]
	v_fma_f64 v[64:65], v[70:71], v[64:65], -v[72:73]
	v_fmac_f64_e32 v[64:65], v[70:71], v[62:63]
	v_add_f64 v[62:63], v[72:73], v[64:65]
	v_add_f64 v[74:75], v[68:69], -v[62:63]
	v_add_f64 v[72:73], v[62:63], -v[72:73]
	;; [unrolled: 1-line block ×5, first 2 shown]
	v_add_f64 v[62:63], v[64:65], v[62:63]
	v_add_f64 v[62:63], v[74:75], v[62:63]
	v_mul_f64 v[62:63], v[66:67], v[62:63]
	v_add_f64 v[64:65], v[70:71], v[62:63]
	v_add_f64 v[66:67], v[64:65], -v[70:71]
	v_add_f64 v[62:63], v[62:63], -v[66:67]
	v_mul_f64 v[66:67], v[64:65], v[64:65]
	v_fma_f64 v[68:69], v[64:65], v[64:65], -v[66:67]
	v_add_f64 v[70:71], v[62:63], v[62:63]
	v_fmac_f64_e32 v[68:69], v[64:65], v[70:71]
	v_add_f64 v[70:71], v[66:67], v[68:69]
	v_add_f64 v[66:67], v[70:71], -v[66:67]
	v_add_f64 v[66:67], v[68:69], -v[66:67]
	v_mov_b64_e32 v[68:69], v[4:5]
	v_fmac_f64_e32 v[68:69], s[10:11], v[70:71]
	v_mov_b64_e32 v[72:73], v[6:7]
	v_fmac_f64_e32 v[72:73], v[70:71], v[68:69]
	;; [unrolled: 2-line block ×8, first 2 shown]
	v_mul_f64 v[68:69], v[64:65], v[70:71]
	v_fma_f64 v[74:75], v[70:71], v[64:65], -v[68:69]
	v_mul_f64 v[76:77], v[70:71], v[72:73]
	v_fmac_f64_e32 v[74:75], v[70:71], v[62:63]
	v_fma_f64 v[70:71], v[70:71], v[72:73], -v[76:77]
	v_fmac_f64_e32 v[70:71], v[66:67], v[72:73]
	v_fmac_f64_e32 v[74:75], v[66:67], v[64:65]
	v_add_f64 v[66:67], v[76:77], v[70:71]
	v_add_f64 v[72:73], v[66:67], -v[76:77]
	v_add_f64 v[70:71], v[70:71], -v[72:73]
	v_add_f64 v[72:73], v[66:67], s[8:9]
	v_add_f64 v[76:77], v[72:73], s[18:19]
	v_add_f64 v[66:67], v[66:67], -v[76:77]
	v_add_f64 v[70:71], v[70:71], s[22:23]
	v_add_f64 v[66:67], v[70:71], v[66:67]
	;; [unrolled: 1-line block ×3, first 2 shown]
	v_add_f64 v[72:73], v[72:73], -v[70:71]
	v_add_f64 v[66:67], v[66:67], v[72:73]
	v_add_f64 v[72:73], v[68:69], v[74:75]
	v_mul_f64 v[76:77], v[72:73], v[70:71]
	v_fma_f64 v[78:79], v[72:73], v[70:71], -v[76:77]
	v_fmac_f64_e32 v[78:79], v[72:73], v[66:67]
	v_add_f64 v[66:67], v[72:73], -v[68:69]
	v_frexp_exp_i32_f64_e32 v61, v[54:55]
	v_add_f64 v[66:67], v[74:75], -v[66:67]
	v_subbrev_co_u32_e32 v61, vcc, 0, v61, vcc
	v_fmac_f64_e32 v[78:79], v[66:67], v[70:71]
	v_cvt_f64_i32_e32 v[66:67], v61
	v_mul_f64 v[68:69], v[66:67], s[12:13]
	v_fma_f64 v[70:71], v[66:67], s[12:13], -v[68:69]
	v_fmac_f64_e32 v[70:71], s[16:17], v[66:67]
	v_add_f64 v[66:67], v[68:69], v[70:71]
	v_add_f64 v[68:69], v[66:67], -v[68:69]
	v_add_f64 v[68:69], v[70:71], -v[68:69]
	v_add_f64 v[70:71], v[76:77], v[78:79]
	v_ldexp_f64 v[64:65], v[64:65], 1
	v_add_f64 v[72:73], v[70:71], -v[76:77]
	v_add_f64 v[74:75], v[64:65], v[70:71]
	v_add_f64 v[72:73], v[78:79], -v[72:73]
	v_add_f64 v[64:65], v[74:75], -v[64:65]
	v_ldexp_f64 v[62:63], v[62:63], 1
	v_add_f64 v[64:65], v[70:71], -v[64:65]
	v_add_f64 v[62:63], v[62:63], v[72:73]
	v_add_f64 v[62:63], v[62:63], v[64:65]
	;; [unrolled: 1-line block ×3, first 2 shown]
	v_add_f64 v[70:71], v[64:65], -v[74:75]
	v_add_f64 v[62:63], v[62:63], -v[70:71]
	v_add_f64 v[70:71], v[66:67], v[64:65]
	v_add_f64 v[72:73], v[70:71], -v[66:67]
	v_add_f64 v[74:75], v[70:71], -v[72:73]
	;; [unrolled: 1-line block ×4, first 2 shown]
	v_add_f64 v[64:65], v[64:65], v[66:67]
	v_add_f64 v[66:67], v[68:69], v[62:63]
	v_add_f64 v[72:73], v[66:67], -v[68:69]
	v_cmp_lt_f64_e32 vcc, 0, v[56:57]
	v_add_f64 v[74:75], v[66:67], -v[72:73]
	v_add_f64 v[68:69], v[68:69], -v[74:75]
	v_cndmask_b32_e64 v61, 0, 1, vcc
	v_cmp_gt_f64_e32 vcc, 0, v[56:57]
	v_add_f64 v[56:57], v[62:63], -v[72:73]
	v_add_f64 v[62:63], v[66:67], v[64:65]
	v_add_f64 v[64:65], v[70:71], v[62:63]
	v_add_f64 v[66:67], v[64:65], -v[70:71]
	v_add_f64 v[56:57], v[56:57], v[68:69]
	v_add_f64 v[62:63], v[62:63], -v[66:67]
	v_add_f64 v[56:57], v[56:57], v[62:63]
	v_add_f64 v[62:63], v[64:65], v[56:57]
	v_add_f64 v[64:65], v[62:63], -v[64:65]
	v_add_f64 v[56:57], v[56:57], -v[64:65]
	v_mul_f64 v[64:65], v[52:53], v[62:63]
	v_fma_f64 v[62:63], v[52:53], v[62:63], -v[64:65]
	v_subbrev_co_u32_e32 v61, vcc, 0, v61, vcc
	v_fmac_f64_e32 v[62:63], v[52:53], v[56:57]
	v_add_f64 v[56:57], v[64:65], v[62:63]
	v_cmp_class_f64_e64 vcc, v[64:65], s42
	v_add_f64 v[66:67], v[56:57], -v[64:65]
	v_add_f64 v[62:63], v[62:63], -v[66:67]
	v_cndmask_b32_e32 v57, v57, v65, vcc
	v_cndmask_b32_e32 v56, v56, v64, vcc
	v_mul_f64 v[64:65], v[56:57], s[26:27]
	v_rndne_f64_e32 v[64:65], v[64:65]
	v_fma_f64 v[66:67], s[28:29], v[64:65], v[56:57]
	v_fmac_f64_e32 v[66:67], s[30:31], v[64:65]
	v_mov_b64_e32 v[68:69], v[26:27]
	v_fmac_f64_e32 v[68:69], s[34:35], v[66:67]
	v_mov_b64_e32 v[70:71], v[28:29]
	;; [unrolled: 2-line block ×9, first 2 shown]
	v_fmac_f64_e32 v[68:69], v[66:67], v[70:71]
	v_fma_f64 v[68:69], v[66:67], v[68:69], 1.0
	v_cmp_neq_f64_e64 vcc, |v[56:57]|, s[24:25]
	v_cvt_f64_i32_e32 v[70:71], v61
	v_fma_f64 v[66:67], v[66:67], v[68:69], 1.0
	v_cvt_i32_f64_e32 v61, v[64:65]
	v_cndmask_b32_e32 v63, 0, v63, vcc
	v_cndmask_b32_e32 v62, 0, v62, vcc
	v_ldexp_f64 v[64:65], v[66:67], v61
	v_cmp_nlt_f64_e32 vcc, s[6:7], v[56:57]
	v_cmp_ngt_f64_e64 s[2:3], s[36:37], v[56:57]
	s_nop 0
	v_cndmask_b32_e32 v61, v59, v65, vcc
	s_and_b64 vcc, s[2:3], vcc
	v_cndmask_b32_e64 v57, 0, v61, s[2:3]
	v_cndmask_b32_e32 v56, 0, v64, vcc
	v_mov_b64_e32 v[64:65], v[56:57]
	v_cmp_neq_f64_e64 s[2:3], v[52:53], |v[52:53]|
	v_fmac_f64_e32 v[64:65], v[64:65], v[62:63]
	v_cmp_class_f64_e64 vcc, v[56:57], s42
	s_xor_b64 s[2:3], s[2:3], s[44:45]
	v_cndmask_b32_e64 v61, v59, 0, s[2:3]
	v_cndmask_b32_e32 v57, v65, v57, vcc
	v_cndmask_b32_e32 v56, v64, v56, vcc
	v_cmp_neq_f64_e64 vcc, |v[54:55]|, 1.0
	v_cmp_gt_f64_e64 s[2:3], 0, v[52:53]
	v_and_b32_e32 v57, 0x7fffffff, v57
	v_cndmask_b32_e32 v61, v58, v61, vcc
	v_cmp_class_f64_e64 vcc, v[52:53], s42
	v_cmp_class_f64_e64 s[44:45], v[54:55], s42
	s_xor_b64 s[2:3], s[2:3], s[46:47]
	v_cndmask_b32_e32 v57, v57, v61, vcc
	v_cndmask_b32_e64 v61, v59, 0, s[2:3]
	s_or_b64 s[2:3], s[46:47], s[44:45]
	v_cndmask_b32_e64 v57, v57, v61, s[2:3]
	s_or_b64 s[2:3], s[2:3], vcc
	v_cndmask_b32_e64 v56, v56, 0, s[2:3]
	v_cmp_o_f64_e64 vcc, |v[54:55]|, v[52:53]
	s_nop 1
	v_cndmask_b32_e32 v52, 0, v56, vcc
	v_cndmask_b32_e32 v53, v60, v57, vcc
	v_mul_f64 v[52:53], v[52:53], v[70:71]
	v_mul_f64 v[52:53], v[36:37], v[52:53]
	v_div_scale_f64 v[54:55], s[2:3], v[50:51], v[50:51], v[52:53]
	v_rcp_f64_e32 v[56:57], v[54:55]
	s_nop 0
	v_fma_f64 v[62:63], -v[54:55], v[56:57], 1.0
	v_fmac_f64_e32 v[56:57], v[56:57], v[62:63]
	v_fma_f64 v[62:63], -v[54:55], v[56:57], 1.0
	v_fmac_f64_e32 v[56:57], v[56:57], v[62:63]
	v_div_scale_f64 v[62:63], vcc, v[52:53], v[50:51], v[52:53]
	v_mul_f64 v[64:65], v[62:63], v[56:57]
	v_fma_f64 v[54:55], -v[54:55], v[64:65], v[62:63]
	s_nop 1
	v_div_fmas_f64 v[54:55], v[54:55], v[56:57], v[64:65]
	v_div_fixup_f64 v[52:53], v[54:55], v[50:51], v[52:53]
	s_branch .LBB32_11
.LBB32_14:
	s_endpgm
	.section	.rodata,"a",@progbits
	.p2align	6, 0x0
	.amdhsa_kernel _ZN2at6native12_GLOBAL__N_131cdist_backward_kernel_cuda_implIdNS1_5distsIdE6lt_twoEEEvPT_PKS6_S9_S9_S9_S6_lllllll
		.amdhsa_group_segment_fixed_size 0
		.amdhsa_private_segment_fixed_size 0
		.amdhsa_kernarg_size 360
		.amdhsa_user_sgpr_count 2
		.amdhsa_user_sgpr_dispatch_ptr 0
		.amdhsa_user_sgpr_queue_ptr 0
		.amdhsa_user_sgpr_kernarg_segment_ptr 1
		.amdhsa_user_sgpr_dispatch_id 0
		.amdhsa_user_sgpr_kernarg_preload_length 0
		.amdhsa_user_sgpr_kernarg_preload_offset 0
		.amdhsa_user_sgpr_private_segment_size 0
		.amdhsa_uses_dynamic_stack 0
		.amdhsa_enable_private_segment 0
		.amdhsa_system_sgpr_workgroup_id_x 1
		.amdhsa_system_sgpr_workgroup_id_y 1
		.amdhsa_system_sgpr_workgroup_id_z 1
		.amdhsa_system_sgpr_workgroup_info 0
		.amdhsa_system_vgpr_workitem_id 1
		.amdhsa_next_free_vgpr 80
		.amdhsa_next_free_sgpr 48
		.amdhsa_accum_offset 80
		.amdhsa_reserve_vcc 1
		.amdhsa_float_round_mode_32 0
		.amdhsa_float_round_mode_16_64 0
		.amdhsa_float_denorm_mode_32 3
		.amdhsa_float_denorm_mode_16_64 3
		.amdhsa_dx10_clamp 1
		.amdhsa_ieee_mode 1
		.amdhsa_fp16_overflow 0
		.amdhsa_tg_split 0
		.amdhsa_exception_fp_ieee_invalid_op 0
		.amdhsa_exception_fp_denorm_src 0
		.amdhsa_exception_fp_ieee_div_zero 0
		.amdhsa_exception_fp_ieee_overflow 0
		.amdhsa_exception_fp_ieee_underflow 0
		.amdhsa_exception_fp_ieee_inexact 0
		.amdhsa_exception_int_div_zero 0
	.end_amdhsa_kernel
	.section	.text._ZN2at6native12_GLOBAL__N_131cdist_backward_kernel_cuda_implIdNS1_5distsIdE6lt_twoEEEvPT_PKS6_S9_S9_S9_S6_lllllll,"axG",@progbits,_ZN2at6native12_GLOBAL__N_131cdist_backward_kernel_cuda_implIdNS1_5distsIdE6lt_twoEEEvPT_PKS6_S9_S9_S9_S6_lllllll,comdat
.Lfunc_end32:
	.size	_ZN2at6native12_GLOBAL__N_131cdist_backward_kernel_cuda_implIdNS1_5distsIdE6lt_twoEEEvPT_PKS6_S9_S9_S9_S6_lllllll, .Lfunc_end32-_ZN2at6native12_GLOBAL__N_131cdist_backward_kernel_cuda_implIdNS1_5distsIdE6lt_twoEEEvPT_PKS6_S9_S9_S9_S6_lllllll
                                        ; -- End function
	.set _ZN2at6native12_GLOBAL__N_131cdist_backward_kernel_cuda_implIdNS1_5distsIdE6lt_twoEEEvPT_PKS6_S9_S9_S9_S6_lllllll.num_vgpr, 80
	.set _ZN2at6native12_GLOBAL__N_131cdist_backward_kernel_cuda_implIdNS1_5distsIdE6lt_twoEEEvPT_PKS6_S9_S9_S9_S6_lllllll.num_agpr, 0
	.set _ZN2at6native12_GLOBAL__N_131cdist_backward_kernel_cuda_implIdNS1_5distsIdE6lt_twoEEEvPT_PKS6_S9_S9_S9_S6_lllllll.numbered_sgpr, 48
	.set _ZN2at6native12_GLOBAL__N_131cdist_backward_kernel_cuda_implIdNS1_5distsIdE6lt_twoEEEvPT_PKS6_S9_S9_S9_S6_lllllll.num_named_barrier, 0
	.set _ZN2at6native12_GLOBAL__N_131cdist_backward_kernel_cuda_implIdNS1_5distsIdE6lt_twoEEEvPT_PKS6_S9_S9_S9_S6_lllllll.private_seg_size, 0
	.set _ZN2at6native12_GLOBAL__N_131cdist_backward_kernel_cuda_implIdNS1_5distsIdE6lt_twoEEEvPT_PKS6_S9_S9_S9_S6_lllllll.uses_vcc, 1
	.set _ZN2at6native12_GLOBAL__N_131cdist_backward_kernel_cuda_implIdNS1_5distsIdE6lt_twoEEEvPT_PKS6_S9_S9_S9_S6_lllllll.uses_flat_scratch, 0
	.set _ZN2at6native12_GLOBAL__N_131cdist_backward_kernel_cuda_implIdNS1_5distsIdE6lt_twoEEEvPT_PKS6_S9_S9_S9_S6_lllllll.has_dyn_sized_stack, 0
	.set _ZN2at6native12_GLOBAL__N_131cdist_backward_kernel_cuda_implIdNS1_5distsIdE6lt_twoEEEvPT_PKS6_S9_S9_S9_S6_lllllll.has_recursion, 0
	.set _ZN2at6native12_GLOBAL__N_131cdist_backward_kernel_cuda_implIdNS1_5distsIdE6lt_twoEEEvPT_PKS6_S9_S9_S9_S6_lllllll.has_indirect_call, 0
	.section	.AMDGPU.csdata,"",@progbits
; Kernel info:
; codeLenInByte = 5532
; TotalNumSgprs: 54
; NumVgprs: 80
; NumAgprs: 0
; TotalNumVgprs: 80
; ScratchSize: 0
; MemoryBound: 0
; FloatMode: 240
; IeeeMode: 1
; LDSByteSize: 0 bytes/workgroup (compile time only)
; SGPRBlocks: 6
; VGPRBlocks: 9
; NumSGPRsForWavesPerEU: 54
; NumVGPRsForWavesPerEU: 80
; AccumOffset: 80
; Occupancy: 6
; WaveLimiterHint : 0
; COMPUTE_PGM_RSRC2:SCRATCH_EN: 0
; COMPUTE_PGM_RSRC2:USER_SGPR: 2
; COMPUTE_PGM_RSRC2:TRAP_HANDLER: 0
; COMPUTE_PGM_RSRC2:TGID_X_EN: 1
; COMPUTE_PGM_RSRC2:TGID_Y_EN: 1
; COMPUTE_PGM_RSRC2:TGID_Z_EN: 1
; COMPUTE_PGM_RSRC2:TIDIG_COMP_CNT: 1
; COMPUTE_PGM_RSRC3_GFX90A:ACCUM_OFFSET: 19
; COMPUTE_PGM_RSRC3_GFX90A:TG_SPLIT: 0
	.section	.text._ZN2at6native12_GLOBAL__N_131cdist_backward_kernel_cuda_implIdNS1_5distsIdE3twoEEEvPT_PKS6_S9_S9_S9_S6_lllllll,"axG",@progbits,_ZN2at6native12_GLOBAL__N_131cdist_backward_kernel_cuda_implIdNS1_5distsIdE3twoEEEvPT_PKS6_S9_S9_S9_S6_lllllll,comdat
	.globl	_ZN2at6native12_GLOBAL__N_131cdist_backward_kernel_cuda_implIdNS1_5distsIdE3twoEEEvPT_PKS6_S9_S9_S9_S6_lllllll ; -- Begin function _ZN2at6native12_GLOBAL__N_131cdist_backward_kernel_cuda_implIdNS1_5distsIdE3twoEEEvPT_PKS6_S9_S9_S9_S6_lllllll
	.p2align	8
	.type	_ZN2at6native12_GLOBAL__N_131cdist_backward_kernel_cuda_implIdNS1_5distsIdE3twoEEEvPT_PKS6_S9_S9_S9_S6_lllllll,@function
_ZN2at6native12_GLOBAL__N_131cdist_backward_kernel_cuda_implIdNS1_5distsIdE3twoEEEvPT_PKS6_S9_S9_S9_S6_lllllll: ; @_ZN2at6native12_GLOBAL__N_131cdist_backward_kernel_cuda_implIdNS1_5distsIdE3twoEEEvPT_PKS6_S9_S9_S9_S6_lllllll
; %bb.0:
	s_load_dwordx2 s[24:25], s[0:1], 0x70
	s_load_dwordx8 s[8:15], s[0:1], 0x30
	s_add_u32 s6, s0, 0x68
	s_addc_u32 s7, s1, 0
	v_bfe_u32 v1, v0, 10, 10
	s_waitcnt lgkmcnt(0)
	s_mul_i32 s3, s24, s3
	s_add_i32 s3, s3, s4
	s_lshr_b32 s4, s25, 16
	s_mul_i32 s3, s3, s4
	v_add_u32_e32 v2, s3, v1
	v_ashrrev_i32_e32 v3, 31, v2
	v_cmp_gt_i64_e32 vcc, s[14:15], v[2:3]
	s_and_saveexec_b64 s[4:5], vcc
	s_cbranch_execz .LBB33_14
; %bb.1:
	s_load_dwordx8 s[16:23], s[0:1], 0x50
	s_and_b32 s33, s25, 0xffff
	s_mul_i32 s2, s2, s33
	v_and_b32_e32 v0, 0x3ff, v0
	v_add_u32_e32 v0, s2, v0
	v_ashrrev_i32_e32 v1, 31, v0
	v_cmp_gt_i64_e32 vcc, s[12:13], v[0:1]
	s_and_b64 exec, exec, vcc
	s_cbranch_execz .LBB33_14
; %bb.2:
	s_waitcnt lgkmcnt(0)
	v_or_b32_e32 v7, s17, v3
	v_mov_b32_e32 v6, 0
	v_cmp_ne_u64_e32 vcc, 0, v[6:7]
                                        ; implicit-def: $vgpr4_vgpr5
	s_and_saveexec_b64 s[2:3], vcc
	s_xor_b64 s[4:5], exec, s[2:3]
	s_cbranch_execz .LBB33_4
; %bb.3:
	s_ashr_i32 s14, s17, 31
	s_add_u32 s2, s16, s14
	s_mov_b32 s15, s14
	s_addc_u32 s3, s17, s14
	s_xor_b64 s[22:23], s[2:3], s[14:15]
	v_cvt_f32_u32_e32 v4, s22
	v_cvt_f32_u32_e32 v5, s23
	s_sub_u32 s15, 0, s22
	s_subb_u32 s24, 0, s23
	v_mov_b32_e32 v11, v6
	v_fmamk_f32 v4, v5, 0x4f800000, v4
	v_rcp_f32_e32 v4, v4
	s_nop 0
	v_mul_f32_e32 v4, 0x5f7ffffc, v4
	v_mul_f32_e32 v5, 0x2f800000, v4
	v_trunc_f32_e32 v5, v5
	v_fmamk_f32 v4, v5, 0xcf800000, v4
	v_cvt_u32_f32_e32 v5, v5
	v_cvt_u32_f32_e32 v4, v4
	v_readfirstlane_b32 s25, v5
	v_readfirstlane_b32 s2, v4
	s_mul_i32 s3, s15, s25
	s_mul_hi_u32 s27, s15, s2
	s_mul_i32 s26, s24, s2
	s_add_i32 s3, s27, s3
	s_add_i32 s3, s3, s26
	s_mul_i32 s28, s15, s2
	s_mul_i32 s27, s2, s3
	s_mul_hi_u32 s29, s2, s28
	s_mul_hi_u32 s26, s2, s3
	s_add_u32 s27, s29, s27
	s_addc_u32 s26, 0, s26
	s_mul_hi_u32 s30, s25, s28
	s_mul_i32 s28, s25, s28
	s_add_u32 s27, s27, s28
	s_mul_hi_u32 s29, s25, s3
	s_addc_u32 s26, s26, s30
	s_addc_u32 s27, s29, 0
	s_mul_i32 s3, s25, s3
	s_add_u32 s3, s26, s3
	s_addc_u32 s26, 0, s27
	s_add_u32 s27, s2, s3
	s_cselect_b64 s[2:3], -1, 0
	s_cmp_lg_u64 s[2:3], 0
	s_addc_u32 s25, s25, s26
	s_mul_i32 s2, s15, s25
	s_mul_hi_u32 s3, s15, s27
	s_add_i32 s2, s3, s2
	s_mul_i32 s24, s24, s27
	s_add_i32 s2, s2, s24
	s_mul_i32 s15, s15, s27
	s_mul_hi_u32 s24, s25, s15
	s_mul_i32 s26, s25, s15
	s_mul_i32 s29, s27, s2
	s_mul_hi_u32 s15, s27, s15
	s_mul_hi_u32 s28, s27, s2
	s_add_u32 s15, s15, s29
	s_addc_u32 s28, 0, s28
	s_add_u32 s15, s15, s26
	s_mul_hi_u32 s3, s25, s2
	s_addc_u32 s15, s28, s24
	s_addc_u32 s3, s3, 0
	s_mul_i32 s2, s25, s2
	s_add_u32 s2, s15, s2
	s_addc_u32 s15, 0, s3
	s_add_u32 s24, s27, s2
	v_ashrrev_i32_e32 v4, 31, v3
	s_cselect_b64 s[2:3], -1, 0
	v_mov_b32_e32 v5, v4
	s_cmp_lg_u64 s[2:3], 0
	v_lshl_add_u64 v[8:9], v[2:3], 0, v[4:5]
	s_addc_u32 s15, s25, s15
	v_xor_b32_e32 v14, v8, v4
	v_xor_b32_e32 v5, v9, v4
	v_mad_u64_u32 v[8:9], s[2:3], v14, s15, 0
	v_mul_hi_u32 v10, v14, s24
	v_lshl_add_u64 v[8:9], v[10:11], 0, v[8:9]
	v_mad_u64_u32 v[12:13], s[2:3], v5, s24, 0
	v_add_co_u32_e32 v7, vcc, v8, v12
	v_mad_u64_u32 v[10:11], s[2:3], v5, s15, 0
	s_nop 0
	v_addc_co_u32_e32 v8, vcc, v9, v13, vcc
	v_mov_b32_e32 v9, v6
	s_nop 0
	v_addc_co_u32_e32 v11, vcc, 0, v11, vcc
	v_lshl_add_u64 v[6:7], v[8:9], 0, v[10:11]
	v_mul_lo_u32 v10, s23, v6
	v_mul_lo_u32 v11, s22, v7
	v_mad_u64_u32 v[8:9], s[2:3], s22, v6, 0
	v_add3_u32 v12, v9, v11, v10
	v_sub_u32_e32 v9, v5, v12
	v_mov_b32_e32 v10, s23
	v_sub_co_u32_e32 v13, vcc, v14, v8
	s_nop 1
	v_subb_co_u32_e64 v8, s[2:3], v9, v10, vcc
	v_subrev_co_u32_e64 v9, s[2:3], s22, v13
	v_subb_co_u32_e32 v5, vcc, v5, v12, vcc
	s_nop 0
	v_subbrev_co_u32_e64 v8, s[2:3], 0, v8, s[2:3]
	v_cmp_le_u32_e64 s[2:3], s23, v8
	v_cmp_le_u32_e32 vcc, s23, v5
	s_nop 0
	v_cndmask_b32_e64 v10, 0, -1, s[2:3]
	v_cmp_le_u32_e64 s[2:3], s22, v9
	s_nop 1
	v_cndmask_b32_e64 v9, 0, -1, s[2:3]
	v_cmp_eq_u32_e64 s[2:3], s23, v8
	s_nop 1
	v_cndmask_b32_e64 v14, v10, v9, s[2:3]
	v_lshl_add_u64 v[8:9], v[6:7], 0, 2
	v_lshl_add_u64 v[10:11], v[6:7], 0, 1
	v_cmp_ne_u32_e64 s[2:3], 0, v14
	s_nop 1
	v_cndmask_b32_e64 v9, v11, v9, s[2:3]
	v_cndmask_b32_e64 v11, 0, -1, vcc
	v_cmp_le_u32_e32 vcc, s22, v13
	s_nop 1
	v_cndmask_b32_e64 v12, 0, -1, vcc
	v_cmp_eq_u32_e32 vcc, s23, v5
	s_nop 1
	v_cndmask_b32_e32 v5, v11, v12, vcc
	v_cmp_ne_u32_e32 vcc, 0, v5
	s_nop 1
	v_cndmask_b32_e32 v5, v7, v9, vcc
	v_cndmask_b32_e64 v7, v10, v8, s[2:3]
	v_cndmask_b32_e32 v6, v6, v7, vcc
	v_xor_b32_e32 v7, s14, v4
	v_xor_b32_e32 v4, v6, v7
	;; [unrolled: 1-line block ×3, first 2 shown]
	v_sub_co_u32_e32 v4, vcc, v4, v7
	s_nop 1
	v_subb_co_u32_e32 v5, vcc, v5, v7, vcc
.LBB33_4:
	s_andn2_saveexec_b64 s[2:3], s[4:5]
	s_cbranch_execz .LBB33_6
; %bb.5:
	v_cvt_f32_u32_e32 v4, s16
	s_sub_i32 s4, 0, s16
	v_rcp_iflag_f32_e32 v4, v4
	s_nop 0
	v_mul_f32_e32 v4, 0x4f7ffffe, v4
	v_cvt_u32_f32_e32 v4, v4
	v_mul_lo_u32 v5, s4, v4
	v_mul_hi_u32 v5, v4, v5
	v_add_u32_e32 v4, v4, v5
	v_mul_hi_u32 v4, v2, v4
	v_mul_lo_u32 v5, v4, s16
	v_sub_u32_e32 v5, v2, v5
	v_add_u32_e32 v6, 1, v4
	v_subrev_u32_e32 v7, s16, v5
	v_cmp_le_u32_e32 vcc, s16, v5
	s_nop 1
	v_cndmask_b32_e32 v5, v5, v7, vcc
	v_cndmask_b32_e32 v4, v4, v6, vcc
	v_add_u32_e32 v6, 1, v4
	v_cmp_le_u32_e32 vcc, s16, v5
	v_mov_b32_e32 v5, 0
	s_nop 0
	v_cndmask_b32_e32 v4, v4, v6, vcc
.LBB33_6:
	s_or_b64 exec, exec, s[2:3]
	v_mul_lo_u32 v5, v5, s16
	v_mul_lo_u32 v6, v4, s17
	v_mad_u64_u32 v[8:9], s[2:3], v4, s16, 0
	v_add3_u32 v5, v9, v6, v5
	v_sub_co_u32_e32 v6, vcc, v2, v8
	v_mov_b32_e32 v10, 0
	s_nop 0
	v_subb_co_u32_e32 v7, vcc, v3, v5, vcc
	v_or_b32_e32 v11, s11, v7
	v_cmp_ne_u64_e32 vcc, 0, v[10:11]
                                        ; implicit-def: $vgpr12_vgpr13
	s_and_saveexec_b64 s[2:3], vcc
	s_xor_b64 s[4:5], exec, s[2:3]
	s_cbranch_execz .LBB33_8
; %bb.7:
	s_ashr_i32 s14, s11, 31
	s_add_u32 s2, s10, s14
	s_mov_b32 s15, s14
	s_addc_u32 s3, s11, s14
	s_xor_b64 s[16:17], s[2:3], s[14:15]
	v_cvt_f32_u32_e32 v5, s16
	v_cvt_f32_u32_e32 v9, s17
	s_sub_u32 s15, 0, s16
	s_subb_u32 s22, 0, s17
	v_ashrrev_i32_e32 v12, 31, v7
	v_fmamk_f32 v5, v9, 0x4f800000, v5
	v_rcp_f32_e32 v5, v5
	v_mov_b32_e32 v13, v12
	v_lshl_add_u64 v[14:15], v[6:7], 0, v[12:13]
	v_mov_b32_e32 v17, v10
	v_mul_f32_e32 v5, 0x5f7ffffc, v5
	v_mul_f32_e32 v9, 0x2f800000, v5
	v_trunc_f32_e32 v9, v9
	v_fmamk_f32 v5, v9, 0xcf800000, v5
	v_cvt_u32_f32_e32 v9, v9
	v_cvt_u32_f32_e32 v5, v5
	v_readfirstlane_b32 s23, v9
	v_readfirstlane_b32 s2, v5
	s_mul_i32 s3, s15, s23
	s_mul_hi_u32 s25, s15, s2
	s_mul_i32 s24, s22, s2
	s_add_i32 s3, s25, s3
	s_add_i32 s3, s3, s24
	s_mul_i32 s26, s15, s2
	s_mul_i32 s25, s2, s3
	s_mul_hi_u32 s27, s2, s26
	s_mul_hi_u32 s24, s2, s3
	s_add_u32 s25, s27, s25
	s_addc_u32 s24, 0, s24
	s_mul_hi_u32 s28, s23, s26
	s_mul_i32 s26, s23, s26
	s_add_u32 s25, s25, s26
	s_mul_hi_u32 s27, s23, s3
	s_addc_u32 s24, s24, s28
	s_addc_u32 s25, s27, 0
	s_mul_i32 s3, s23, s3
	s_add_u32 s3, s24, s3
	s_addc_u32 s24, 0, s25
	s_add_u32 s25, s2, s3
	s_cselect_b64 s[2:3], -1, 0
	s_cmp_lg_u64 s[2:3], 0
	s_addc_u32 s23, s23, s24
	s_mul_i32 s2, s15, s23
	s_mul_hi_u32 s3, s15, s25
	s_add_i32 s2, s3, s2
	s_mul_i32 s22, s22, s25
	s_add_i32 s2, s2, s22
	s_mul_i32 s15, s15, s25
	s_mul_hi_u32 s22, s23, s15
	s_mul_i32 s24, s23, s15
	s_mul_i32 s27, s25, s2
	s_mul_hi_u32 s15, s25, s15
	s_mul_hi_u32 s26, s25, s2
	s_add_u32 s15, s15, s27
	s_addc_u32 s26, 0, s26
	s_add_u32 s15, s15, s24
	s_mul_hi_u32 s3, s23, s2
	s_addc_u32 s15, s26, s22
	s_addc_u32 s3, s3, 0
	s_mul_i32 s2, s23, s2
	s_add_u32 s2, s15, s2
	s_addc_u32 s15, 0, s3
	s_add_u32 s22, s25, s2
	s_cselect_b64 s[2:3], -1, 0
	s_cmp_lg_u64 s[2:3], 0
	s_addc_u32 s15, s23, s15
	v_xor_b32_e32 v9, v14, v12
	v_xor_b32_e32 v5, v15, v12
	v_mad_u64_u32 v[14:15], s[2:3], v9, s15, 0
	v_mul_hi_u32 v16, v9, s22
	v_lshl_add_u64 v[14:15], v[16:17], 0, v[14:15]
	v_mad_u64_u32 v[18:19], s[2:3], v5, s22, 0
	v_add_co_u32_e32 v11, vcc, v14, v18
	v_mad_u64_u32 v[16:17], s[2:3], v5, s15, 0
	s_nop 0
	v_addc_co_u32_e32 v14, vcc, v15, v19, vcc
	v_mov_b32_e32 v15, v10
	s_nop 0
	v_addc_co_u32_e32 v17, vcc, 0, v17, vcc
	v_lshl_add_u64 v[10:11], v[14:15], 0, v[16:17]
	v_mul_lo_u32 v13, s17, v10
	v_mul_lo_u32 v16, s16, v11
	v_mad_u64_u32 v[14:15], s[2:3], s16, v10, 0
	v_add3_u32 v13, v15, v16, v13
	v_sub_u32_e32 v15, v5, v13
	v_mov_b32_e32 v16, s17
	v_sub_co_u32_e32 v9, vcc, v9, v14
	s_nop 1
	v_subb_co_u32_e64 v14, s[2:3], v15, v16, vcc
	v_subrev_co_u32_e64 v15, s[2:3], s16, v9
	v_subb_co_u32_e32 v5, vcc, v5, v13, vcc
	s_nop 0
	v_subbrev_co_u32_e64 v14, s[2:3], 0, v14, s[2:3]
	v_cmp_le_u32_e64 s[2:3], s17, v14
	v_cmp_le_u32_e32 vcc, s17, v5
	s_nop 0
	v_cndmask_b32_e64 v16, 0, -1, s[2:3]
	v_cmp_le_u32_e64 s[2:3], s16, v15
	v_cndmask_b32_e64 v13, 0, -1, vcc
	v_cmp_le_u32_e32 vcc, s16, v9
	v_cndmask_b32_e64 v15, 0, -1, s[2:3]
	v_cmp_eq_u32_e64 s[2:3], s17, v14
	v_cndmask_b32_e64 v9, 0, -1, vcc
	v_cmp_eq_u32_e32 vcc, s17, v5
	v_cndmask_b32_e64 v18, v16, v15, s[2:3]
	v_lshl_add_u64 v[14:15], v[10:11], 0, 2
	v_lshl_add_u64 v[16:17], v[10:11], 0, 1
	v_cmp_ne_u32_e64 s[2:3], 0, v18
	v_cndmask_b32_e32 v5, v13, v9, vcc
	v_cmp_ne_u32_e32 vcc, 0, v5
	v_cndmask_b32_e64 v9, v16, v14, s[2:3]
	v_cndmask_b32_e64 v15, v17, v15, s[2:3]
	v_cndmask_b32_e32 v9, v10, v9, vcc
	v_xor_b32_e32 v10, s14, v12
	v_cndmask_b32_e32 v5, v11, v15, vcc
	v_xor_b32_e32 v9, v9, v10
	v_xor_b32_e32 v5, v5, v10
	v_sub_co_u32_e32 v12, vcc, v9, v10
	s_nop 1
	v_subb_co_u32_e32 v13, vcc, v5, v10, vcc
.LBB33_8:
	s_or_saveexec_b64 s[2:3], s[4:5]
	s_load_dword s4, s[6:7], 0x0
	s_xor_b64 exec, exec, s[2:3]
	s_cbranch_execz .LBB33_10
; %bb.9:
	v_cvt_f32_u32_e32 v5, s10
	s_sub_i32 s5, 0, s10
	v_mov_b32_e32 v13, 0
	v_rcp_iflag_f32_e32 v5, v5
	s_nop 0
	v_mul_f32_e32 v5, 0x4f7ffffe, v5
	v_cvt_u32_f32_e32 v5, v5
	v_mul_lo_u32 v9, s5, v5
	v_mul_hi_u32 v9, v5, v9
	v_add_u32_e32 v5, v5, v9
	v_mul_hi_u32 v5, v6, v5
	v_mul_lo_u32 v9, v5, s10
	v_sub_u32_e32 v9, v6, v9
	v_add_u32_e32 v10, 1, v5
	v_subrev_u32_e32 v11, s10, v9
	v_cmp_le_u32_e32 vcc, s10, v9
	s_nop 1
	v_cndmask_b32_e32 v9, v9, v11, vcc
	v_cndmask_b32_e32 v5, v5, v10, vcc
	v_add_u32_e32 v10, 1, v5
	v_cmp_le_u32_e32 vcc, s10, v9
	s_nop 1
	v_cndmask_b32_e32 v12, v5, v10, vcc
.LBB33_10:
	s_or_b64 exec, exec, s[2:3]
	s_load_dwordx2 s[2:3], s[0:1], 0x20
	s_load_dwordx8 s[24:31], s[0:1], 0x0
	v_lshlrev_b64 v[10:11], 3, v[2:3]
	v_ashrrev_i32_e32 v20, 31, v4
	v_mul_lo_u32 v24, v13, s10
	s_waitcnt lgkmcnt(0)
	v_lshl_add_u64 v[2:3], s[2:3], 0, v[10:11]
	global_load_dwordx2 v[2:3], v[2:3], off
	v_lshl_add_u64 v[10:11], s[26:27], 0, v[10:11]
	global_load_dwordx2 v[10:11], v[10:11], off
	v_mul_lo_u32 v25, v12, s11
	v_mad_u64_u32 v[18:19], s[0:1], v12, s10, 0
	v_mul_lo_u32 v21, v4, s19
	v_mad_u64_u32 v[14:15], s[0:1], v4, s18, 0
	v_mul_lo_u32 v27, v20, s18
	v_add3_u32 v19, v19, v25, v24
	v_sub_co_u32_e32 v18, vcc, v6, v18
	v_mul_lo_u32 v22, v13, s12
	v_mul_lo_u32 v23, v12, s13
	v_mad_u64_u32 v[16:17], s[0:1], v12, s12, 0
	v_mul_lo_u32 v26, v4, s21
	v_mad_u64_u32 v[4:5], s[0:1], v4, s20, 0
	v_mul_lo_u32 v20, v20, s20
	v_add3_u32 v15, v15, v21, v27
	v_subb_co_u32_e32 v21, vcc, v7, v19, vcc
	v_mad_u64_u32 v[6:7], s[0:1], v18, s8, v[12:13]
	v_add3_u32 v17, v17, v23, v22
	v_mul_lo_u32 v22, v18, s9
	v_add3_u32 v5, v5, v26, v20
	v_mul_lo_u32 v20, v18, s13
	v_mad_u64_u32 v[12:13], s[0:1], v18, s12, 0
	v_mul_lo_u32 v23, v21, s8
	v_mul_lo_u32 v24, v6, s13
	v_mad_u64_u32 v[18:19], s[0:1], v6, s12, 0
	v_mul_lo_u32 v6, v21, s12
	v_mul_lo_u32 v9, s12, v8
	v_mov_b32_e32 v8, 0
	v_add3_u32 v22, v23, v7, v22
	v_add3_u32 v13, v13, v20, v6
	v_mov_b32_e32 v6, s28
	v_mov_b32_e32 v7, s29
	s_mul_i32 s2, s4, s33
	v_ashrrev_i64 v[8:9], 29, v[8:9]
	v_mov_b32_e32 v20, s30
	v_mov_b32_e32 v21, s31
	v_mul_lo_u32 v22, v22, s12
	v_lshl_add_u64 v[6:7], v[14:15], 3, v[6:7]
	v_lshlrev_b64 v[0:1], 3, v[0:1]
	s_ashr_i32 s3, s2, 31
	v_lshl_add_u64 v[8:9], s[24:25], 0, v[8:9]
	v_add3_u32 v19, v19, v24, v22
	v_lshl_add_u64 v[14:15], v[4:5], 3, v[20:21]
	v_lshl_add_u64 v[4:5], v[16:17], 3, v[6:7]
	s_mov_b64 s[4:5], 0
	v_lshl_add_u64 v[6:7], v[18:19], 3, v[8:9]
	v_lshl_add_u64 v[8:9], v[12:13], 3, v[14:15]
	;; [unrolled: 1-line block ×4, first 2 shown]
	s_lshl_b64 s[6:7], s[2:3], 3
	s_waitcnt vmcnt(1)
	v_cmp_neq_f64_e64 s[0:1], 0, v[2:3]
	s_branch .LBB33_12
.LBB33_11:                              ;   in Loop: Header=BB33_12 Depth=1
	s_or_b64 exec, exec, s[8:9]
	v_lshl_add_u64 v[14:15], s[2:3], 3, v[14:15]
	v_cmp_ge_u64_e32 vcc, v[14:15], v[12:13]
	v_lshl_add_u64 v[18:19], v[6:7], 0, v[0:1]
	s_or_b64 s[4:5], vcc, s[4:5]
	v_lshl_add_u64 v[0:1], v[0:1], 0, s[6:7]
	global_store_dwordx2 v[18:19], v[16:17], off
	s_andn2_b64 exec, exec, s[4:5]
	s_cbranch_execz .LBB33_14
.LBB33_12:                              ; =>This Inner Loop Header: Depth=1
	v_mov_b64_e32 v[16:17], 0
	s_and_saveexec_b64 s[8:9], s[0:1]
	s_cbranch_execz .LBB33_11
; %bb.13:                               ;   in Loop: Header=BB33_12 Depth=1
	v_lshl_add_u64 v[18:19], v[4:5], 0, v[0:1]
	v_lshl_add_u64 v[16:17], v[8:9], 0, v[0:1]
	global_load_dwordx2 v[20:21], v[18:19], off
	global_load_dwordx2 v[22:23], v[16:17], off
	s_waitcnt vmcnt(0)
	v_add_f64 v[16:17], v[20:21], -v[22:23]
	v_mul_f64 v[16:17], v[10:11], v[16:17]
	v_div_scale_f64 v[18:19], s[10:11], v[2:3], v[2:3], v[16:17]
	v_rcp_f64_e32 v[20:21], v[18:19]
	v_div_scale_f64 v[22:23], vcc, v[16:17], v[2:3], v[16:17]
	v_fma_f64 v[24:25], -v[18:19], v[20:21], 1.0
	v_fmac_f64_e32 v[20:21], v[20:21], v[24:25]
	v_fma_f64 v[24:25], -v[18:19], v[20:21], 1.0
	v_fmac_f64_e32 v[20:21], v[20:21], v[24:25]
	v_mul_f64 v[24:25], v[22:23], v[20:21]
	v_fma_f64 v[18:19], -v[18:19], v[24:25], v[22:23]
	v_div_fmas_f64 v[18:19], v[18:19], v[20:21], v[24:25]
	v_div_fixup_f64 v[16:17], v[18:19], v[2:3], v[16:17]
	s_branch .LBB33_11
.LBB33_14:
	s_endpgm
	.section	.rodata,"a",@progbits
	.p2align	6, 0x0
	.amdhsa_kernel _ZN2at6native12_GLOBAL__N_131cdist_backward_kernel_cuda_implIdNS1_5distsIdE3twoEEEvPT_PKS6_S9_S9_S9_S6_lllllll
		.amdhsa_group_segment_fixed_size 0
		.amdhsa_private_segment_fixed_size 0
		.amdhsa_kernarg_size 360
		.amdhsa_user_sgpr_count 2
		.amdhsa_user_sgpr_dispatch_ptr 0
		.amdhsa_user_sgpr_queue_ptr 0
		.amdhsa_user_sgpr_kernarg_segment_ptr 1
		.amdhsa_user_sgpr_dispatch_id 0
		.amdhsa_user_sgpr_kernarg_preload_length 0
		.amdhsa_user_sgpr_kernarg_preload_offset 0
		.amdhsa_user_sgpr_private_segment_size 0
		.amdhsa_uses_dynamic_stack 0
		.amdhsa_enable_private_segment 0
		.amdhsa_system_sgpr_workgroup_id_x 1
		.amdhsa_system_sgpr_workgroup_id_y 1
		.amdhsa_system_sgpr_workgroup_id_z 1
		.amdhsa_system_sgpr_workgroup_info 0
		.amdhsa_system_vgpr_workitem_id 1
		.amdhsa_next_free_vgpr 28
		.amdhsa_next_free_sgpr 34
		.amdhsa_accum_offset 28
		.amdhsa_reserve_vcc 1
		.amdhsa_float_round_mode_32 0
		.amdhsa_float_round_mode_16_64 0
		.amdhsa_float_denorm_mode_32 3
		.amdhsa_float_denorm_mode_16_64 3
		.amdhsa_dx10_clamp 1
		.amdhsa_ieee_mode 1
		.amdhsa_fp16_overflow 0
		.amdhsa_tg_split 0
		.amdhsa_exception_fp_ieee_invalid_op 0
		.amdhsa_exception_fp_denorm_src 0
		.amdhsa_exception_fp_ieee_div_zero 0
		.amdhsa_exception_fp_ieee_overflow 0
		.amdhsa_exception_fp_ieee_underflow 0
		.amdhsa_exception_fp_ieee_inexact 0
		.amdhsa_exception_int_div_zero 0
	.end_amdhsa_kernel
	.section	.text._ZN2at6native12_GLOBAL__N_131cdist_backward_kernel_cuda_implIdNS1_5distsIdE3twoEEEvPT_PKS6_S9_S9_S9_S6_lllllll,"axG",@progbits,_ZN2at6native12_GLOBAL__N_131cdist_backward_kernel_cuda_implIdNS1_5distsIdE3twoEEEvPT_PKS6_S9_S9_S9_S6_lllllll,comdat
.Lfunc_end33:
	.size	_ZN2at6native12_GLOBAL__N_131cdist_backward_kernel_cuda_implIdNS1_5distsIdE3twoEEEvPT_PKS6_S9_S9_S9_S6_lllllll, .Lfunc_end33-_ZN2at6native12_GLOBAL__N_131cdist_backward_kernel_cuda_implIdNS1_5distsIdE3twoEEEvPT_PKS6_S9_S9_S9_S6_lllllll
                                        ; -- End function
	.set _ZN2at6native12_GLOBAL__N_131cdist_backward_kernel_cuda_implIdNS1_5distsIdE3twoEEEvPT_PKS6_S9_S9_S9_S6_lllllll.num_vgpr, 28
	.set _ZN2at6native12_GLOBAL__N_131cdist_backward_kernel_cuda_implIdNS1_5distsIdE3twoEEEvPT_PKS6_S9_S9_S9_S6_lllllll.num_agpr, 0
	.set _ZN2at6native12_GLOBAL__N_131cdist_backward_kernel_cuda_implIdNS1_5distsIdE3twoEEEvPT_PKS6_S9_S9_S9_S6_lllllll.numbered_sgpr, 34
	.set _ZN2at6native12_GLOBAL__N_131cdist_backward_kernel_cuda_implIdNS1_5distsIdE3twoEEEvPT_PKS6_S9_S9_S9_S6_lllllll.num_named_barrier, 0
	.set _ZN2at6native12_GLOBAL__N_131cdist_backward_kernel_cuda_implIdNS1_5distsIdE3twoEEEvPT_PKS6_S9_S9_S9_S6_lllllll.private_seg_size, 0
	.set _ZN2at6native12_GLOBAL__N_131cdist_backward_kernel_cuda_implIdNS1_5distsIdE3twoEEEvPT_PKS6_S9_S9_S9_S6_lllllll.uses_vcc, 1
	.set _ZN2at6native12_GLOBAL__N_131cdist_backward_kernel_cuda_implIdNS1_5distsIdE3twoEEEvPT_PKS6_S9_S9_S9_S6_lllllll.uses_flat_scratch, 0
	.set _ZN2at6native12_GLOBAL__N_131cdist_backward_kernel_cuda_implIdNS1_5distsIdE3twoEEEvPT_PKS6_S9_S9_S9_S6_lllllll.has_dyn_sized_stack, 0
	.set _ZN2at6native12_GLOBAL__N_131cdist_backward_kernel_cuda_implIdNS1_5distsIdE3twoEEEvPT_PKS6_S9_S9_S9_S6_lllllll.has_recursion, 0
	.set _ZN2at6native12_GLOBAL__N_131cdist_backward_kernel_cuda_implIdNS1_5distsIdE3twoEEEvPT_PKS6_S9_S9_S9_S6_lllllll.has_indirect_call, 0
	.section	.AMDGPU.csdata,"",@progbits
; Kernel info:
; codeLenInByte = 2392
; TotalNumSgprs: 40
; NumVgprs: 28
; NumAgprs: 0
; TotalNumVgprs: 28
; ScratchSize: 0
; MemoryBound: 0
; FloatMode: 240
; IeeeMode: 1
; LDSByteSize: 0 bytes/workgroup (compile time only)
; SGPRBlocks: 4
; VGPRBlocks: 3
; NumSGPRsForWavesPerEU: 40
; NumVGPRsForWavesPerEU: 28
; AccumOffset: 28
; Occupancy: 8
; WaveLimiterHint : 0
; COMPUTE_PGM_RSRC2:SCRATCH_EN: 0
; COMPUTE_PGM_RSRC2:USER_SGPR: 2
; COMPUTE_PGM_RSRC2:TRAP_HANDLER: 0
; COMPUTE_PGM_RSRC2:TGID_X_EN: 1
; COMPUTE_PGM_RSRC2:TGID_Y_EN: 1
; COMPUTE_PGM_RSRC2:TGID_Z_EN: 1
; COMPUTE_PGM_RSRC2:TIDIG_COMP_CNT: 1
; COMPUTE_PGM_RSRC3_GFX90A:ACCUM_OFFSET: 6
; COMPUTE_PGM_RSRC3_GFX90A:TG_SPLIT: 0
	.section	.text._ZN2at6native12_GLOBAL__N_131cdist_backward_kernel_cuda_implIdNS1_5distsIdE3infEEEvPT_PKS6_S9_S9_S9_S6_lllllll,"axG",@progbits,_ZN2at6native12_GLOBAL__N_131cdist_backward_kernel_cuda_implIdNS1_5distsIdE3infEEEvPT_PKS6_S9_S9_S9_S6_lllllll,comdat
	.globl	_ZN2at6native12_GLOBAL__N_131cdist_backward_kernel_cuda_implIdNS1_5distsIdE3infEEEvPT_PKS6_S9_S9_S9_S6_lllllll ; -- Begin function _ZN2at6native12_GLOBAL__N_131cdist_backward_kernel_cuda_implIdNS1_5distsIdE3infEEEvPT_PKS6_S9_S9_S9_S6_lllllll
	.p2align	8
	.type	_ZN2at6native12_GLOBAL__N_131cdist_backward_kernel_cuda_implIdNS1_5distsIdE3infEEEvPT_PKS6_S9_S9_S9_S6_lllllll,@function
_ZN2at6native12_GLOBAL__N_131cdist_backward_kernel_cuda_implIdNS1_5distsIdE3infEEEvPT_PKS6_S9_S9_S9_S6_lllllll: ; @_ZN2at6native12_GLOBAL__N_131cdist_backward_kernel_cuda_implIdNS1_5distsIdE3infEEEvPT_PKS6_S9_S9_S9_S6_lllllll
; %bb.0:
	s_load_dwordx2 s[24:25], s[0:1], 0x70
	s_load_dwordx8 s[8:15], s[0:1], 0x30
	s_add_u32 s6, s0, 0x68
	s_addc_u32 s7, s1, 0
	v_bfe_u32 v1, v0, 10, 10
	s_waitcnt lgkmcnt(0)
	s_mul_i32 s3, s24, s3
	s_add_i32 s3, s3, s4
	s_lshr_b32 s4, s25, 16
	s_mul_i32 s3, s3, s4
	v_add_u32_e32 v2, s3, v1
	v_ashrrev_i32_e32 v3, 31, v2
	v_cmp_gt_i64_e32 vcc, s[14:15], v[2:3]
	s_and_saveexec_b64 s[4:5], vcc
	s_cbranch_execz .LBB34_12
; %bb.1:
	s_load_dwordx8 s[16:23], s[0:1], 0x50
	s_and_b32 s33, s25, 0xffff
	s_mul_i32 s2, s2, s33
	v_and_b32_e32 v0, 0x3ff, v0
	v_add_u32_e32 v0, s2, v0
	v_ashrrev_i32_e32 v1, 31, v0
	v_cmp_gt_i64_e32 vcc, s[12:13], v[0:1]
	s_and_b64 exec, exec, vcc
	s_cbranch_execz .LBB34_12
; %bb.2:
	s_waitcnt lgkmcnt(0)
	v_or_b32_e32 v7, s17, v3
	v_mov_b32_e32 v6, 0
	v_cmp_ne_u64_e32 vcc, 0, v[6:7]
                                        ; implicit-def: $vgpr4_vgpr5
	s_and_saveexec_b64 s[2:3], vcc
	s_xor_b64 s[4:5], exec, s[2:3]
	s_cbranch_execz .LBB34_4
; %bb.3:
	s_ashr_i32 s14, s17, 31
	s_add_u32 s2, s16, s14
	s_mov_b32 s15, s14
	s_addc_u32 s3, s17, s14
	s_xor_b64 s[22:23], s[2:3], s[14:15]
	v_cvt_f32_u32_e32 v4, s22
	v_cvt_f32_u32_e32 v5, s23
	s_sub_u32 s15, 0, s22
	s_subb_u32 s24, 0, s23
	v_mov_b32_e32 v11, v6
	v_fmamk_f32 v4, v5, 0x4f800000, v4
	v_rcp_f32_e32 v4, v4
	s_nop 0
	v_mul_f32_e32 v4, 0x5f7ffffc, v4
	v_mul_f32_e32 v5, 0x2f800000, v4
	v_trunc_f32_e32 v5, v5
	v_fmamk_f32 v4, v5, 0xcf800000, v4
	v_cvt_u32_f32_e32 v5, v5
	v_cvt_u32_f32_e32 v4, v4
	v_readfirstlane_b32 s25, v5
	v_readfirstlane_b32 s2, v4
	s_mul_i32 s3, s15, s25
	s_mul_hi_u32 s27, s15, s2
	s_mul_i32 s26, s24, s2
	s_add_i32 s3, s27, s3
	s_add_i32 s3, s3, s26
	s_mul_i32 s28, s15, s2
	s_mul_i32 s27, s2, s3
	s_mul_hi_u32 s29, s2, s28
	s_mul_hi_u32 s26, s2, s3
	s_add_u32 s27, s29, s27
	s_addc_u32 s26, 0, s26
	s_mul_hi_u32 s30, s25, s28
	s_mul_i32 s28, s25, s28
	s_add_u32 s27, s27, s28
	s_mul_hi_u32 s29, s25, s3
	s_addc_u32 s26, s26, s30
	s_addc_u32 s27, s29, 0
	s_mul_i32 s3, s25, s3
	s_add_u32 s3, s26, s3
	s_addc_u32 s26, 0, s27
	s_add_u32 s27, s2, s3
	s_cselect_b64 s[2:3], -1, 0
	s_cmp_lg_u64 s[2:3], 0
	s_addc_u32 s25, s25, s26
	s_mul_i32 s2, s15, s25
	s_mul_hi_u32 s3, s15, s27
	s_add_i32 s2, s3, s2
	s_mul_i32 s24, s24, s27
	s_add_i32 s2, s2, s24
	s_mul_i32 s15, s15, s27
	s_mul_hi_u32 s24, s25, s15
	s_mul_i32 s26, s25, s15
	s_mul_i32 s29, s27, s2
	s_mul_hi_u32 s15, s27, s15
	s_mul_hi_u32 s28, s27, s2
	s_add_u32 s15, s15, s29
	s_addc_u32 s28, 0, s28
	s_add_u32 s15, s15, s26
	s_mul_hi_u32 s3, s25, s2
	s_addc_u32 s15, s28, s24
	s_addc_u32 s3, s3, 0
	s_mul_i32 s2, s25, s2
	s_add_u32 s2, s15, s2
	s_addc_u32 s15, 0, s3
	s_add_u32 s24, s27, s2
	v_ashrrev_i32_e32 v4, 31, v3
	s_cselect_b64 s[2:3], -1, 0
	v_mov_b32_e32 v5, v4
	s_cmp_lg_u64 s[2:3], 0
	v_lshl_add_u64 v[8:9], v[2:3], 0, v[4:5]
	s_addc_u32 s15, s25, s15
	v_xor_b32_e32 v14, v8, v4
	v_xor_b32_e32 v5, v9, v4
	v_mad_u64_u32 v[8:9], s[2:3], v14, s15, 0
	v_mul_hi_u32 v10, v14, s24
	v_lshl_add_u64 v[8:9], v[10:11], 0, v[8:9]
	v_mad_u64_u32 v[12:13], s[2:3], v5, s24, 0
	v_add_co_u32_e32 v7, vcc, v8, v12
	v_mad_u64_u32 v[10:11], s[2:3], v5, s15, 0
	s_nop 0
	v_addc_co_u32_e32 v8, vcc, v9, v13, vcc
	v_mov_b32_e32 v9, v6
	s_nop 0
	v_addc_co_u32_e32 v11, vcc, 0, v11, vcc
	v_lshl_add_u64 v[6:7], v[8:9], 0, v[10:11]
	v_mul_lo_u32 v10, s23, v6
	v_mul_lo_u32 v11, s22, v7
	v_mad_u64_u32 v[8:9], s[2:3], s22, v6, 0
	v_add3_u32 v12, v9, v11, v10
	v_sub_u32_e32 v9, v5, v12
	v_mov_b32_e32 v10, s23
	v_sub_co_u32_e32 v13, vcc, v14, v8
	s_nop 1
	v_subb_co_u32_e64 v8, s[2:3], v9, v10, vcc
	v_subrev_co_u32_e64 v9, s[2:3], s22, v13
	v_subb_co_u32_e32 v5, vcc, v5, v12, vcc
	s_nop 0
	v_subbrev_co_u32_e64 v8, s[2:3], 0, v8, s[2:3]
	v_cmp_le_u32_e64 s[2:3], s23, v8
	v_cmp_le_u32_e32 vcc, s23, v5
	s_nop 0
	v_cndmask_b32_e64 v10, 0, -1, s[2:3]
	v_cmp_le_u32_e64 s[2:3], s22, v9
	s_nop 1
	v_cndmask_b32_e64 v9, 0, -1, s[2:3]
	v_cmp_eq_u32_e64 s[2:3], s23, v8
	s_nop 1
	v_cndmask_b32_e64 v14, v10, v9, s[2:3]
	v_lshl_add_u64 v[8:9], v[6:7], 0, 2
	v_lshl_add_u64 v[10:11], v[6:7], 0, 1
	v_cmp_ne_u32_e64 s[2:3], 0, v14
	s_nop 1
	v_cndmask_b32_e64 v9, v11, v9, s[2:3]
	v_cndmask_b32_e64 v11, 0, -1, vcc
	v_cmp_le_u32_e32 vcc, s22, v13
	s_nop 1
	v_cndmask_b32_e64 v12, 0, -1, vcc
	v_cmp_eq_u32_e32 vcc, s23, v5
	s_nop 1
	v_cndmask_b32_e32 v5, v11, v12, vcc
	v_cmp_ne_u32_e32 vcc, 0, v5
	s_nop 1
	v_cndmask_b32_e32 v5, v7, v9, vcc
	v_cndmask_b32_e64 v7, v10, v8, s[2:3]
	v_cndmask_b32_e32 v6, v6, v7, vcc
	v_xor_b32_e32 v7, s14, v4
	v_xor_b32_e32 v4, v6, v7
	;; [unrolled: 1-line block ×3, first 2 shown]
	v_sub_co_u32_e32 v4, vcc, v4, v7
	s_nop 1
	v_subb_co_u32_e32 v5, vcc, v5, v7, vcc
.LBB34_4:
	s_andn2_saveexec_b64 s[2:3], s[4:5]
	s_cbranch_execz .LBB34_6
; %bb.5:
	v_cvt_f32_u32_e32 v4, s16
	s_sub_i32 s4, 0, s16
	v_rcp_iflag_f32_e32 v4, v4
	s_nop 0
	v_mul_f32_e32 v4, 0x4f7ffffe, v4
	v_cvt_u32_f32_e32 v4, v4
	v_mul_lo_u32 v5, s4, v4
	v_mul_hi_u32 v5, v4, v5
	v_add_u32_e32 v4, v4, v5
	v_mul_hi_u32 v4, v2, v4
	v_mul_lo_u32 v5, v4, s16
	v_sub_u32_e32 v5, v2, v5
	v_add_u32_e32 v6, 1, v4
	v_subrev_u32_e32 v7, s16, v5
	v_cmp_le_u32_e32 vcc, s16, v5
	s_nop 1
	v_cndmask_b32_e32 v5, v5, v7, vcc
	v_cndmask_b32_e32 v4, v4, v6, vcc
	v_add_u32_e32 v6, 1, v4
	v_cmp_le_u32_e32 vcc, s16, v5
	v_mov_b32_e32 v5, 0
	s_nop 0
	v_cndmask_b32_e32 v4, v4, v6, vcc
.LBB34_6:
	s_or_b64 exec, exec, s[2:3]
	v_mul_lo_u32 v5, v5, s16
	v_mul_lo_u32 v6, v4, s17
	v_mad_u64_u32 v[8:9], s[2:3], v4, s16, 0
	v_add3_u32 v5, v9, v6, v5
	v_sub_co_u32_e32 v6, vcc, v2, v8
	v_mov_b32_e32 v10, 0
	s_nop 0
	v_subb_co_u32_e32 v7, vcc, v3, v5, vcc
	v_or_b32_e32 v11, s11, v7
	v_cmp_ne_u64_e32 vcc, 0, v[10:11]
                                        ; implicit-def: $vgpr18_vgpr19
	s_and_saveexec_b64 s[2:3], vcc
	s_xor_b64 s[4:5], exec, s[2:3]
	s_cbranch_execz .LBB34_8
; %bb.7:
	s_ashr_i32 s14, s11, 31
	s_add_u32 s2, s10, s14
	s_mov_b32 s15, s14
	s_addc_u32 s3, s11, s14
	s_xor_b64 s[16:17], s[2:3], s[14:15]
	v_cvt_f32_u32_e32 v5, s16
	v_cvt_f32_u32_e32 v9, s17
	s_sub_u32 s15, 0, s16
	s_subb_u32 s22, 0, s17
	v_ashrrev_i32_e32 v12, 31, v7
	v_fmamk_f32 v5, v9, 0x4f800000, v5
	v_rcp_f32_e32 v5, v5
	v_mov_b32_e32 v13, v12
	v_lshl_add_u64 v[14:15], v[6:7], 0, v[12:13]
	v_mov_b32_e32 v17, v10
	v_mul_f32_e32 v5, 0x5f7ffffc, v5
	v_mul_f32_e32 v9, 0x2f800000, v5
	v_trunc_f32_e32 v9, v9
	v_fmamk_f32 v5, v9, 0xcf800000, v5
	v_cvt_u32_f32_e32 v9, v9
	v_cvt_u32_f32_e32 v5, v5
	v_readfirstlane_b32 s23, v9
	v_readfirstlane_b32 s2, v5
	s_mul_i32 s3, s15, s23
	s_mul_hi_u32 s25, s15, s2
	s_mul_i32 s24, s22, s2
	s_add_i32 s3, s25, s3
	s_add_i32 s3, s3, s24
	s_mul_i32 s26, s15, s2
	s_mul_i32 s25, s2, s3
	s_mul_hi_u32 s27, s2, s26
	s_mul_hi_u32 s24, s2, s3
	s_add_u32 s25, s27, s25
	s_addc_u32 s24, 0, s24
	s_mul_hi_u32 s28, s23, s26
	s_mul_i32 s26, s23, s26
	s_add_u32 s25, s25, s26
	s_mul_hi_u32 s27, s23, s3
	s_addc_u32 s24, s24, s28
	s_addc_u32 s25, s27, 0
	s_mul_i32 s3, s23, s3
	s_add_u32 s3, s24, s3
	s_addc_u32 s24, 0, s25
	s_add_u32 s25, s2, s3
	s_cselect_b64 s[2:3], -1, 0
	s_cmp_lg_u64 s[2:3], 0
	s_addc_u32 s23, s23, s24
	s_mul_i32 s2, s15, s23
	s_mul_hi_u32 s3, s15, s25
	s_add_i32 s2, s3, s2
	s_mul_i32 s22, s22, s25
	s_add_i32 s2, s2, s22
	s_mul_i32 s15, s15, s25
	s_mul_hi_u32 s22, s23, s15
	s_mul_i32 s24, s23, s15
	s_mul_i32 s27, s25, s2
	s_mul_hi_u32 s15, s25, s15
	s_mul_hi_u32 s26, s25, s2
	s_add_u32 s15, s15, s27
	s_addc_u32 s26, 0, s26
	s_add_u32 s15, s15, s24
	s_mul_hi_u32 s3, s23, s2
	s_addc_u32 s15, s26, s22
	s_addc_u32 s3, s3, 0
	s_mul_i32 s2, s23, s2
	s_add_u32 s2, s15, s2
	s_addc_u32 s15, 0, s3
	s_add_u32 s22, s25, s2
	s_cselect_b64 s[2:3], -1, 0
	s_cmp_lg_u64 s[2:3], 0
	s_addc_u32 s15, s23, s15
	v_xor_b32_e32 v9, v14, v12
	v_xor_b32_e32 v5, v15, v12
	v_mad_u64_u32 v[14:15], s[2:3], v9, s15, 0
	v_mul_hi_u32 v16, v9, s22
	v_lshl_add_u64 v[14:15], v[16:17], 0, v[14:15]
	v_mad_u64_u32 v[18:19], s[2:3], v5, s22, 0
	v_add_co_u32_e32 v11, vcc, v14, v18
	v_mad_u64_u32 v[16:17], s[2:3], v5, s15, 0
	s_nop 0
	v_addc_co_u32_e32 v14, vcc, v15, v19, vcc
	v_mov_b32_e32 v15, v10
	s_nop 0
	v_addc_co_u32_e32 v17, vcc, 0, v17, vcc
	v_lshl_add_u64 v[10:11], v[14:15], 0, v[16:17]
	v_mul_lo_u32 v13, s17, v10
	v_mul_lo_u32 v16, s16, v11
	v_mad_u64_u32 v[14:15], s[2:3], s16, v10, 0
	v_add3_u32 v13, v15, v16, v13
	v_sub_u32_e32 v15, v5, v13
	v_mov_b32_e32 v16, s17
	v_sub_co_u32_e32 v9, vcc, v9, v14
	s_nop 1
	v_subb_co_u32_e64 v14, s[2:3], v15, v16, vcc
	v_subrev_co_u32_e64 v15, s[2:3], s16, v9
	v_subb_co_u32_e32 v5, vcc, v5, v13, vcc
	s_nop 0
	v_subbrev_co_u32_e64 v14, s[2:3], 0, v14, s[2:3]
	v_cmp_le_u32_e64 s[2:3], s17, v14
	v_cmp_le_u32_e32 vcc, s17, v5
	s_nop 0
	v_cndmask_b32_e64 v16, 0, -1, s[2:3]
	v_cmp_le_u32_e64 s[2:3], s16, v15
	v_cndmask_b32_e64 v13, 0, -1, vcc
	v_cmp_le_u32_e32 vcc, s16, v9
	v_cndmask_b32_e64 v15, 0, -1, s[2:3]
	v_cmp_eq_u32_e64 s[2:3], s17, v14
	v_cndmask_b32_e64 v9, 0, -1, vcc
	v_cmp_eq_u32_e32 vcc, s17, v5
	v_cndmask_b32_e64 v18, v16, v15, s[2:3]
	v_lshl_add_u64 v[14:15], v[10:11], 0, 2
	v_lshl_add_u64 v[16:17], v[10:11], 0, 1
	v_cmp_ne_u32_e64 s[2:3], 0, v18
	v_cndmask_b32_e32 v5, v13, v9, vcc
	v_cmp_ne_u32_e32 vcc, 0, v5
	v_cndmask_b32_e64 v9, v16, v14, s[2:3]
	v_cndmask_b32_e64 v15, v17, v15, s[2:3]
	v_cndmask_b32_e32 v9, v10, v9, vcc
	v_xor_b32_e32 v10, s14, v12
	v_cndmask_b32_e32 v5, v11, v15, vcc
	v_xor_b32_e32 v9, v9, v10
	v_xor_b32_e32 v5, v5, v10
	v_sub_co_u32_e32 v18, vcc, v9, v10
	s_nop 1
	v_subb_co_u32_e32 v19, vcc, v5, v10, vcc
.LBB34_8:
	s_or_saveexec_b64 s[2:3], s[4:5]
	s_load_dword s4, s[6:7], 0x0
	s_xor_b64 exec, exec, s[2:3]
	s_cbranch_execz .LBB34_10
; %bb.9:
	v_cvt_f32_u32_e32 v5, s10
	s_sub_i32 s5, 0, s10
	v_mov_b32_e32 v19, 0
	v_rcp_iflag_f32_e32 v5, v5
	s_nop 0
	v_mul_f32_e32 v5, 0x4f7ffffe, v5
	v_cvt_u32_f32_e32 v5, v5
	v_mul_lo_u32 v9, s5, v5
	v_mul_hi_u32 v9, v5, v9
	v_add_u32_e32 v5, v5, v9
	v_mul_hi_u32 v5, v6, v5
	v_mul_lo_u32 v9, v5, s10
	v_sub_u32_e32 v9, v6, v9
	v_add_u32_e32 v10, 1, v5
	v_subrev_u32_e32 v11, s10, v9
	v_cmp_le_u32_e32 vcc, s10, v9
	s_nop 1
	v_cndmask_b32_e32 v9, v9, v11, vcc
	v_cndmask_b32_e32 v5, v5, v10, vcc
	v_add_u32_e32 v10, 1, v5
	v_cmp_le_u32_e32 vcc, s10, v9
	s_nop 1
	v_cndmask_b32_e32 v18, v5, v10, vcc
.LBB34_10:
	s_or_b64 exec, exec, s[2:3]
	s_load_dwordx8 s[24:31], s[0:1], 0x0
	s_load_dwordx2 s[2:3], s[0:1], 0x20
	v_lshlrev_b64 v[2:3], 3, v[2:3]
	v_ashrrev_i32_e32 v5, 31, v4
	v_mul_lo_u32 v9, v4, s19
	s_waitcnt lgkmcnt(0)
	v_lshl_add_u64 v[12:13], s[26:27], 0, v[2:3]
	v_lshl_add_u64 v[14:15], s[2:3], 0, v[2:3]
	global_load_dwordx2 v[2:3], v[12:13], off
	global_load_dwordx2 v[10:11], v[14:15], off
	v_mul_lo_u32 v16, v5, s18
	v_mad_u64_u32 v[14:15], s[0:1], v4, s18, 0
	v_mov_b32_e32 v12, s28
	v_mov_b32_e32 v13, s29
	v_add3_u32 v15, v15, v9, v16
	v_lshl_add_u64 v[12:13], v[14:15], 3, v[12:13]
	v_mul_lo_u32 v9, v19, s12
	v_mul_lo_u32 v16, v18, s13
	v_mad_u64_u32 v[14:15], s[0:1], v18, s12, 0
	v_add3_u32 v15, v15, v16, v9
	v_mul_lo_u32 v9, s12, v8
	v_mov_b32_e32 v8, 0
	v_ashrrev_i64 v[22:23], 29, v[8:9]
	v_mul_lo_u32 v9, v19, s10
	v_mul_lo_u32 v26, v18, s11
	v_mad_u64_u32 v[24:25], s[0:1], v18, s10, 0
	v_add3_u32 v9, v25, v26, v9
	v_sub_co_u32_e32 v24, vcc, v6, v24
	v_mul_lo_u32 v25, v24, s9
	s_nop 0
	v_subb_co_u32_e32 v9, vcc, v7, v9, vcc
	v_mul_lo_u32 v26, v9, s8
	v_mad_u64_u32 v[6:7], s[0:1], v24, s8, v[18:19]
	v_add3_u32 v7, v26, v7, v25
	v_mul_lo_u32 v18, v7, s12
	v_mul_lo_u32 v19, v6, s13
	v_mad_u64_u32 v[6:7], s[0:1], v6, s12, 0
	v_add3_u32 v7, v7, v19, v18
	v_mul_lo_u32 v18, v4, s21
	v_mul_lo_u32 v19, v5, s20
	v_mad_u64_u32 v[4:5], s[0:1], v4, s20, 0
	v_mov_b32_e32 v20, s30
	v_mov_b32_e32 v21, s31
	v_add3_u32 v5, v5, v18, v19
	v_mad_u64_u32 v[18:19], s[0:1], v24, s12, 0
	v_lshl_add_u64 v[4:5], v[4:5], 3, v[20:21]
	v_mul_lo_u32 v9, v9, s12
	v_mul_lo_u32 v20, v24, s13
	s_mul_i32 s0, s4, s33
	v_lshl_add_u64 v[12:13], v[14:15], 3, v[12:13]
	v_lshlrev_b64 v[0:1], 3, v[0:1]
	v_lshl_add_u64 v[22:23], s[24:25], 0, v[22:23]
	v_add3_u32 v19, v19, v20, v9
	s_ashr_i32 s1, s0, 31
	v_lshl_add_u64 v[14:15], s[12:13], 3, v[12:13]
	v_lshl_add_u64 v[16:17], v[12:13], 0, v[0:1]
	;; [unrolled: 1-line block ×4, first 2 shown]
	s_lshl_b64 s[2:3], s[0:1], 3
	s_mov_b64 s[4:5], 0
	v_mov_b32_e32 v18, 0x3ff00000
.LBB34_11:                              ; =>This Inner Loop Header: Depth=1
	v_lshl_add_u64 v[22:23], v[12:13], 0, v[0:1]
	v_lshl_add_u64 v[20:21], v[4:5], 0, v[0:1]
	global_load_dwordx2 v[24:25], v[22:23], off
	global_load_dwordx2 v[26:27], v[20:21], off
	v_lshl_add_u64 v[16:17], s[0:1], 3, v[16:17]
	v_cmp_ge_u64_e32 vcc, v[16:17], v[14:15]
	s_or_b64 s[4:5], vcc, s[4:5]
	v_lshl_add_u64 v[20:21], v[6:7], 0, v[0:1]
	v_lshl_add_u64 v[0:1], v[0:1], 0, s[2:3]
	s_waitcnt vmcnt(0)
	v_add_f64 v[22:23], v[24:25], -v[26:27]
	v_cmp_lt_f64_e32 vcc, 0, v[22:23]
	s_nop 1
	v_cndmask_b32_e64 v19, 0, 1, vcc
	v_cmp_eq_f64_e64 vcc, |v[22:23]|, v[10:11]
	s_nop 1
	v_cndmask_b32_e32 v9, 0, v18, vcc
	v_cmp_gt_f64_e32 vcc, 0, v[22:23]
	s_nop 1
	v_subbrev_co_u32_e32 v19, vcc, 0, v19, vcc
	v_cvt_f64_i32_e32 v[22:23], v19
	v_mul_f64 v[22:23], v[2:3], v[22:23]
	v_mul_f64 v[22:23], v[22:23], v[8:9]
	global_store_dwordx2 v[20:21], v[22:23], off
	s_andn2_b64 exec, exec, s[4:5]
	s_cbranch_execnz .LBB34_11
.LBB34_12:
	s_endpgm
	.section	.rodata,"a",@progbits
	.p2align	6, 0x0
	.amdhsa_kernel _ZN2at6native12_GLOBAL__N_131cdist_backward_kernel_cuda_implIdNS1_5distsIdE3infEEEvPT_PKS6_S9_S9_S9_S6_lllllll
		.amdhsa_group_segment_fixed_size 0
		.amdhsa_private_segment_fixed_size 0
		.amdhsa_kernarg_size 360
		.amdhsa_user_sgpr_count 2
		.amdhsa_user_sgpr_dispatch_ptr 0
		.amdhsa_user_sgpr_queue_ptr 0
		.amdhsa_user_sgpr_kernarg_segment_ptr 1
		.amdhsa_user_sgpr_dispatch_id 0
		.amdhsa_user_sgpr_kernarg_preload_length 0
		.amdhsa_user_sgpr_kernarg_preload_offset 0
		.amdhsa_user_sgpr_private_segment_size 0
		.amdhsa_uses_dynamic_stack 0
		.amdhsa_enable_private_segment 0
		.amdhsa_system_sgpr_workgroup_id_x 1
		.amdhsa_system_sgpr_workgroup_id_y 1
		.amdhsa_system_sgpr_workgroup_id_z 1
		.amdhsa_system_sgpr_workgroup_info 0
		.amdhsa_system_vgpr_workitem_id 1
		.amdhsa_next_free_vgpr 28
		.amdhsa_next_free_sgpr 34
		.amdhsa_accum_offset 28
		.amdhsa_reserve_vcc 1
		.amdhsa_float_round_mode_32 0
		.amdhsa_float_round_mode_16_64 0
		.amdhsa_float_denorm_mode_32 3
		.amdhsa_float_denorm_mode_16_64 3
		.amdhsa_dx10_clamp 1
		.amdhsa_ieee_mode 1
		.amdhsa_fp16_overflow 0
		.amdhsa_tg_split 0
		.amdhsa_exception_fp_ieee_invalid_op 0
		.amdhsa_exception_fp_denorm_src 0
		.amdhsa_exception_fp_ieee_div_zero 0
		.amdhsa_exception_fp_ieee_overflow 0
		.amdhsa_exception_fp_ieee_underflow 0
		.amdhsa_exception_fp_ieee_inexact 0
		.amdhsa_exception_int_div_zero 0
	.end_amdhsa_kernel
	.section	.text._ZN2at6native12_GLOBAL__N_131cdist_backward_kernel_cuda_implIdNS1_5distsIdE3infEEEvPT_PKS6_S9_S9_S9_S6_lllllll,"axG",@progbits,_ZN2at6native12_GLOBAL__N_131cdist_backward_kernel_cuda_implIdNS1_5distsIdE3infEEEvPT_PKS6_S9_S9_S9_S6_lllllll,comdat
.Lfunc_end34:
	.size	_ZN2at6native12_GLOBAL__N_131cdist_backward_kernel_cuda_implIdNS1_5distsIdE3infEEEvPT_PKS6_S9_S9_S9_S6_lllllll, .Lfunc_end34-_ZN2at6native12_GLOBAL__N_131cdist_backward_kernel_cuda_implIdNS1_5distsIdE3infEEEvPT_PKS6_S9_S9_S9_S6_lllllll
                                        ; -- End function
	.set _ZN2at6native12_GLOBAL__N_131cdist_backward_kernel_cuda_implIdNS1_5distsIdE3infEEEvPT_PKS6_S9_S9_S9_S6_lllllll.num_vgpr, 28
	.set _ZN2at6native12_GLOBAL__N_131cdist_backward_kernel_cuda_implIdNS1_5distsIdE3infEEEvPT_PKS6_S9_S9_S9_S6_lllllll.num_agpr, 0
	.set _ZN2at6native12_GLOBAL__N_131cdist_backward_kernel_cuda_implIdNS1_5distsIdE3infEEEvPT_PKS6_S9_S9_S9_S6_lllllll.numbered_sgpr, 34
	.set _ZN2at6native12_GLOBAL__N_131cdist_backward_kernel_cuda_implIdNS1_5distsIdE3infEEEvPT_PKS6_S9_S9_S9_S6_lllllll.num_named_barrier, 0
	.set _ZN2at6native12_GLOBAL__N_131cdist_backward_kernel_cuda_implIdNS1_5distsIdE3infEEEvPT_PKS6_S9_S9_S9_S6_lllllll.private_seg_size, 0
	.set _ZN2at6native12_GLOBAL__N_131cdist_backward_kernel_cuda_implIdNS1_5distsIdE3infEEEvPT_PKS6_S9_S9_S9_S6_lllllll.uses_vcc, 1
	.set _ZN2at6native12_GLOBAL__N_131cdist_backward_kernel_cuda_implIdNS1_5distsIdE3infEEEvPT_PKS6_S9_S9_S9_S6_lllllll.uses_flat_scratch, 0
	.set _ZN2at6native12_GLOBAL__N_131cdist_backward_kernel_cuda_implIdNS1_5distsIdE3infEEEvPT_PKS6_S9_S9_S9_S6_lllllll.has_dyn_sized_stack, 0
	.set _ZN2at6native12_GLOBAL__N_131cdist_backward_kernel_cuda_implIdNS1_5distsIdE3infEEEvPT_PKS6_S9_S9_S9_S6_lllllll.has_recursion, 0
	.set _ZN2at6native12_GLOBAL__N_131cdist_backward_kernel_cuda_implIdNS1_5distsIdE3infEEEvPT_PKS6_S9_S9_S9_S6_lllllll.has_indirect_call, 0
	.section	.AMDGPU.csdata,"",@progbits
; Kernel info:
; codeLenInByte = 2348
; TotalNumSgprs: 40
; NumVgprs: 28
; NumAgprs: 0
; TotalNumVgprs: 28
; ScratchSize: 0
; MemoryBound: 0
; FloatMode: 240
; IeeeMode: 1
; LDSByteSize: 0 bytes/workgroup (compile time only)
; SGPRBlocks: 4
; VGPRBlocks: 3
; NumSGPRsForWavesPerEU: 40
; NumVGPRsForWavesPerEU: 28
; AccumOffset: 28
; Occupancy: 8
; WaveLimiterHint : 0
; COMPUTE_PGM_RSRC2:SCRATCH_EN: 0
; COMPUTE_PGM_RSRC2:USER_SGPR: 2
; COMPUTE_PGM_RSRC2:TRAP_HANDLER: 0
; COMPUTE_PGM_RSRC2:TGID_X_EN: 1
; COMPUTE_PGM_RSRC2:TGID_Y_EN: 1
; COMPUTE_PGM_RSRC2:TGID_Z_EN: 1
; COMPUTE_PGM_RSRC2:TIDIG_COMP_CNT: 1
; COMPUTE_PGM_RSRC3_GFX90A:ACCUM_OFFSET: 6
; COMPUTE_PGM_RSRC3_GFX90A:TG_SPLIT: 0
	.section	.text._ZN2at6native12_GLOBAL__N_131cdist_backward_kernel_cuda_implIfNS1_5distsIfE1pEEEvPT_PKS6_S9_S9_S9_S6_lllllll,"axG",@progbits,_ZN2at6native12_GLOBAL__N_131cdist_backward_kernel_cuda_implIfNS1_5distsIfE1pEEEvPT_PKS6_S9_S9_S9_S6_lllllll,comdat
	.globl	_ZN2at6native12_GLOBAL__N_131cdist_backward_kernel_cuda_implIfNS1_5distsIfE1pEEEvPT_PKS6_S9_S9_S9_S6_lllllll ; -- Begin function _ZN2at6native12_GLOBAL__N_131cdist_backward_kernel_cuda_implIfNS1_5distsIfE1pEEEvPT_PKS6_S9_S9_S9_S6_lllllll
	.p2align	8
	.type	_ZN2at6native12_GLOBAL__N_131cdist_backward_kernel_cuda_implIfNS1_5distsIfE1pEEEvPT_PKS6_S9_S9_S9_S6_lllllll,@function
_ZN2at6native12_GLOBAL__N_131cdist_backward_kernel_cuda_implIfNS1_5distsIfE1pEEEvPT_PKS6_S9_S9_S9_S6_lllllll: ; @_ZN2at6native12_GLOBAL__N_131cdist_backward_kernel_cuda_implIfNS1_5distsIfE1pEEEvPT_PKS6_S9_S9_S9_S6_lllllll
; %bb.0:
	s_load_dwordx2 s[24:25], s[0:1], 0x70
	s_load_dwordx8 s[8:15], s[0:1], 0x30
	s_add_u32 s6, s0, 0x68
	s_addc_u32 s7, s1, 0
	v_bfe_u32 v1, v0, 10, 10
	s_waitcnt lgkmcnt(0)
	s_mul_i32 s3, s24, s3
	s_add_i32 s3, s3, s4
	s_lshr_b32 s4, s25, 16
	s_mul_i32 s3, s3, s4
	v_add_u32_e32 v2, s3, v1
	v_ashrrev_i32_e32 v3, 31, v2
	v_cmp_gt_i64_e32 vcc, s[14:15], v[2:3]
	s_and_saveexec_b64 s[4:5], vcc
	s_cbranch_execz .LBB35_14
; %bb.1:
	s_load_dwordx8 s[16:23], s[0:1], 0x50
	s_and_b32 s33, s25, 0xffff
	s_mul_i32 s2, s2, s33
	v_and_b32_e32 v0, 0x3ff, v0
	v_add_u32_e32 v0, s2, v0
	v_ashrrev_i32_e32 v1, 31, v0
	v_cmp_gt_i64_e32 vcc, s[12:13], v[0:1]
	s_and_b64 exec, exec, vcc
	s_cbranch_execz .LBB35_14
; %bb.2:
	s_waitcnt lgkmcnt(0)
	v_or_b32_e32 v5, s17, v3
	v_mov_b32_e32 v4, 0
	v_cmp_ne_u64_e32 vcc, 0, v[4:5]
                                        ; implicit-def: $vgpr6_vgpr7
	s_and_saveexec_b64 s[2:3], vcc
	s_xor_b64 s[4:5], exec, s[2:3]
	s_cbranch_execz .LBB35_4
; %bb.3:
	s_ashr_i32 s14, s17, 31
	s_add_u32 s2, s16, s14
	s_mov_b32 s15, s14
	s_addc_u32 s3, s17, s14
	s_xor_b64 s[22:23], s[2:3], s[14:15]
	v_cvt_f32_u32_e32 v5, s22
	v_cvt_f32_u32_e32 v6, s23
	s_sub_u32 s15, 0, s22
	s_subb_u32 s24, 0, s23
	v_mov_b32_e32 v11, v4
	v_fmamk_f32 v5, v6, 0x4f800000, v5
	v_rcp_f32_e32 v5, v5
	s_nop 0
	v_mul_f32_e32 v5, 0x5f7ffffc, v5
	v_mul_f32_e32 v6, 0x2f800000, v5
	v_trunc_f32_e32 v6, v6
	v_fmamk_f32 v5, v6, 0xcf800000, v5
	v_cvt_u32_f32_e32 v6, v6
	v_cvt_u32_f32_e32 v5, v5
	v_readfirstlane_b32 s25, v6
	v_readfirstlane_b32 s2, v5
	s_mul_i32 s3, s15, s25
	s_mul_hi_u32 s27, s15, s2
	s_mul_i32 s26, s24, s2
	s_add_i32 s3, s27, s3
	s_add_i32 s3, s3, s26
	s_mul_i32 s28, s15, s2
	s_mul_i32 s27, s2, s3
	s_mul_hi_u32 s29, s2, s28
	s_mul_hi_u32 s26, s2, s3
	s_add_u32 s27, s29, s27
	s_addc_u32 s26, 0, s26
	s_mul_hi_u32 s30, s25, s28
	s_mul_i32 s28, s25, s28
	s_add_u32 s27, s27, s28
	s_mul_hi_u32 s29, s25, s3
	s_addc_u32 s26, s26, s30
	s_addc_u32 s27, s29, 0
	s_mul_i32 s3, s25, s3
	s_add_u32 s3, s26, s3
	s_addc_u32 s26, 0, s27
	s_add_u32 s27, s2, s3
	s_cselect_b64 s[2:3], -1, 0
	s_cmp_lg_u64 s[2:3], 0
	s_addc_u32 s25, s25, s26
	s_mul_i32 s2, s15, s25
	s_mul_hi_u32 s3, s15, s27
	s_add_i32 s2, s3, s2
	s_mul_i32 s24, s24, s27
	s_add_i32 s2, s2, s24
	s_mul_i32 s15, s15, s27
	s_mul_hi_u32 s24, s25, s15
	s_mul_i32 s26, s25, s15
	s_mul_i32 s29, s27, s2
	s_mul_hi_u32 s15, s27, s15
	s_mul_hi_u32 s28, s27, s2
	s_add_u32 s15, s15, s29
	s_addc_u32 s28, 0, s28
	s_add_u32 s15, s15, s26
	s_mul_hi_u32 s3, s25, s2
	s_addc_u32 s15, s28, s24
	s_addc_u32 s3, s3, 0
	s_mul_i32 s2, s25, s2
	s_add_u32 s2, s15, s2
	s_addc_u32 s15, 0, s3
	s_add_u32 s24, s27, s2
	v_ashrrev_i32_e32 v6, 31, v3
	s_cselect_b64 s[2:3], -1, 0
	v_mov_b32_e32 v7, v6
	s_cmp_lg_u64 s[2:3], 0
	v_lshl_add_u64 v[8:9], v[2:3], 0, v[6:7]
	s_addc_u32 s15, s25, s15
	v_xor_b32_e32 v14, v8, v6
	v_xor_b32_e32 v7, v9, v6
	v_mad_u64_u32 v[8:9], s[2:3], v14, s15, 0
	v_mul_hi_u32 v10, v14, s24
	v_lshl_add_u64 v[8:9], v[10:11], 0, v[8:9]
	v_mad_u64_u32 v[12:13], s[2:3], v7, s24, 0
	v_add_co_u32_e32 v5, vcc, v8, v12
	v_mad_u64_u32 v[10:11], s[2:3], v7, s15, 0
	s_nop 0
	v_addc_co_u32_e32 v8, vcc, v9, v13, vcc
	v_mov_b32_e32 v9, v4
	s_nop 0
	v_addc_co_u32_e32 v11, vcc, 0, v11, vcc
	v_lshl_add_u64 v[4:5], v[8:9], 0, v[10:11]
	v_mul_lo_u32 v10, s23, v4
	v_mul_lo_u32 v11, s22, v5
	v_mad_u64_u32 v[8:9], s[2:3], s22, v4, 0
	v_add3_u32 v12, v9, v11, v10
	v_sub_u32_e32 v9, v7, v12
	v_mov_b32_e32 v10, s23
	v_sub_co_u32_e32 v13, vcc, v14, v8
	s_nop 1
	v_subb_co_u32_e64 v8, s[2:3], v9, v10, vcc
	v_subrev_co_u32_e64 v9, s[2:3], s22, v13
	v_subb_co_u32_e32 v7, vcc, v7, v12, vcc
	s_nop 0
	v_subbrev_co_u32_e64 v8, s[2:3], 0, v8, s[2:3]
	v_cmp_le_u32_e64 s[2:3], s23, v8
	v_cmp_le_u32_e32 vcc, s23, v7
	s_nop 0
	v_cndmask_b32_e64 v10, 0, -1, s[2:3]
	v_cmp_le_u32_e64 s[2:3], s22, v9
	s_nop 1
	v_cndmask_b32_e64 v9, 0, -1, s[2:3]
	v_cmp_eq_u32_e64 s[2:3], s23, v8
	s_nop 1
	v_cndmask_b32_e64 v14, v10, v9, s[2:3]
	v_lshl_add_u64 v[8:9], v[4:5], 0, 2
	v_lshl_add_u64 v[10:11], v[4:5], 0, 1
	v_cmp_ne_u32_e64 s[2:3], 0, v14
	s_nop 1
	v_cndmask_b32_e64 v9, v11, v9, s[2:3]
	v_cndmask_b32_e64 v11, 0, -1, vcc
	v_cmp_le_u32_e32 vcc, s22, v13
	s_nop 1
	v_cndmask_b32_e64 v12, 0, -1, vcc
	v_cmp_eq_u32_e32 vcc, s23, v7
	s_nop 1
	v_cndmask_b32_e32 v7, v11, v12, vcc
	v_cmp_ne_u32_e32 vcc, 0, v7
	v_cndmask_b32_e64 v7, v10, v8, s[2:3]
	s_nop 0
	v_cndmask_b32_e32 v4, v4, v7, vcc
	v_xor_b32_e32 v7, s14, v6
	v_cndmask_b32_e32 v5, v5, v9, vcc
	v_xor_b32_e32 v4, v4, v7
	v_xor_b32_e32 v5, v5, v7
	v_sub_co_u32_e32 v6, vcc, v4, v7
	s_nop 1
	v_subb_co_u32_e32 v7, vcc, v5, v7, vcc
.LBB35_4:
	s_andn2_saveexec_b64 s[2:3], s[4:5]
	s_cbranch_execz .LBB35_6
; %bb.5:
	v_cvt_f32_u32_e32 v4, s16
	s_sub_i32 s4, 0, s16
	v_rcp_iflag_f32_e32 v4, v4
	s_nop 0
	v_mul_f32_e32 v4, 0x4f7ffffe, v4
	v_cvt_u32_f32_e32 v4, v4
	v_mul_lo_u32 v5, s4, v4
	v_mul_hi_u32 v5, v4, v5
	v_add_u32_e32 v4, v4, v5
	v_mul_hi_u32 v4, v2, v4
	v_mul_lo_u32 v5, v4, s16
	v_sub_u32_e32 v5, v2, v5
	v_add_u32_e32 v6, 1, v4
	v_subrev_u32_e32 v7, s16, v5
	v_cmp_le_u32_e32 vcc, s16, v5
	s_nop 1
	v_cndmask_b32_e32 v5, v5, v7, vcc
	v_cndmask_b32_e32 v4, v4, v6, vcc
	v_add_u32_e32 v6, 1, v4
	v_cmp_le_u32_e32 vcc, s16, v5
	v_mov_b32_e32 v7, 0
	s_nop 0
	v_cndmask_b32_e32 v6, v4, v6, vcc
.LBB35_6:
	s_or_b64 exec, exec, s[2:3]
	v_mul_lo_u32 v4, v7, s16
	v_mul_lo_u32 v5, v6, s17
	v_mad_u64_u32 v[8:9], s[2:3], v6, s16, 0
	v_add3_u32 v5, v9, v5, v4
	v_sub_co_u32_e32 v4, vcc, v2, v8
	v_mov_b32_e32 v12, 0
	s_nop 0
	v_subb_co_u32_e32 v5, vcc, v3, v5, vcc
	v_or_b32_e32 v13, s11, v5
	v_cmp_ne_u64_e32 vcc, 0, v[12:13]
                                        ; implicit-def: $vgpr10_vgpr11
	s_and_saveexec_b64 s[2:3], vcc
	s_xor_b64 s[4:5], exec, s[2:3]
	s_cbranch_execz .LBB35_8
; %bb.7:
	s_ashr_i32 s14, s11, 31
	s_add_u32 s2, s10, s14
	s_mov_b32 s15, s14
	s_addc_u32 s3, s11, s14
	s_xor_b64 s[16:17], s[2:3], s[14:15]
	v_cvt_f32_u32_e32 v7, s16
	v_cvt_f32_u32_e32 v9, s17
	s_sub_u32 s15, 0, s16
	s_subb_u32 s22, 0, s17
	v_ashrrev_i32_e32 v10, 31, v5
	v_fmamk_f32 v7, v9, 0x4f800000, v7
	v_rcp_f32_e32 v7, v7
	v_mov_b32_e32 v11, v10
	v_lshl_add_u64 v[14:15], v[4:5], 0, v[10:11]
	v_mov_b32_e32 v17, v12
	v_mul_f32_e32 v7, 0x5f7ffffc, v7
	v_mul_f32_e32 v9, 0x2f800000, v7
	v_trunc_f32_e32 v9, v9
	v_fmamk_f32 v7, v9, 0xcf800000, v7
	v_cvt_u32_f32_e32 v9, v9
	v_cvt_u32_f32_e32 v7, v7
	v_readfirstlane_b32 s23, v9
	v_readfirstlane_b32 s2, v7
	s_mul_i32 s3, s15, s23
	s_mul_hi_u32 s25, s15, s2
	s_mul_i32 s24, s22, s2
	s_add_i32 s3, s25, s3
	s_add_i32 s3, s3, s24
	s_mul_i32 s26, s15, s2
	s_mul_i32 s25, s2, s3
	s_mul_hi_u32 s27, s2, s26
	s_mul_hi_u32 s24, s2, s3
	s_add_u32 s25, s27, s25
	s_addc_u32 s24, 0, s24
	s_mul_hi_u32 s28, s23, s26
	s_mul_i32 s26, s23, s26
	s_add_u32 s25, s25, s26
	s_mul_hi_u32 s27, s23, s3
	s_addc_u32 s24, s24, s28
	s_addc_u32 s25, s27, 0
	s_mul_i32 s3, s23, s3
	s_add_u32 s3, s24, s3
	s_addc_u32 s24, 0, s25
	s_add_u32 s25, s2, s3
	s_cselect_b64 s[2:3], -1, 0
	s_cmp_lg_u64 s[2:3], 0
	s_addc_u32 s23, s23, s24
	s_mul_i32 s2, s15, s23
	s_mul_hi_u32 s3, s15, s25
	s_add_i32 s2, s3, s2
	s_mul_i32 s22, s22, s25
	s_add_i32 s2, s2, s22
	s_mul_i32 s15, s15, s25
	s_mul_hi_u32 s22, s23, s15
	s_mul_i32 s24, s23, s15
	s_mul_i32 s27, s25, s2
	s_mul_hi_u32 s15, s25, s15
	s_mul_hi_u32 s26, s25, s2
	s_add_u32 s15, s15, s27
	s_addc_u32 s26, 0, s26
	s_add_u32 s15, s15, s24
	s_mul_hi_u32 s3, s23, s2
	s_addc_u32 s15, s26, s22
	s_addc_u32 s3, s3, 0
	s_mul_i32 s2, s23, s2
	s_add_u32 s2, s15, s2
	s_addc_u32 s15, 0, s3
	s_add_u32 s22, s25, s2
	s_cselect_b64 s[2:3], -1, 0
	s_cmp_lg_u64 s[2:3], 0
	s_addc_u32 s15, s23, s15
	v_xor_b32_e32 v9, v14, v10
	v_xor_b32_e32 v7, v15, v10
	v_mad_u64_u32 v[14:15], s[2:3], v9, s15, 0
	v_mul_hi_u32 v16, v9, s22
	v_lshl_add_u64 v[14:15], v[16:17], 0, v[14:15]
	v_mad_u64_u32 v[18:19], s[2:3], v7, s22, 0
	v_add_co_u32_e32 v11, vcc, v14, v18
	v_mad_u64_u32 v[16:17], s[2:3], v7, s15, 0
	s_nop 0
	v_addc_co_u32_e32 v14, vcc, v15, v19, vcc
	v_mov_b32_e32 v15, v12
	s_nop 0
	v_addc_co_u32_e32 v17, vcc, 0, v17, vcc
	v_lshl_add_u64 v[12:13], v[14:15], 0, v[16:17]
	v_mul_lo_u32 v11, s17, v12
	v_mul_lo_u32 v16, s16, v13
	v_mad_u64_u32 v[14:15], s[2:3], s16, v12, 0
	v_add3_u32 v11, v15, v16, v11
	v_sub_u32_e32 v15, v7, v11
	v_mov_b32_e32 v16, s17
	v_sub_co_u32_e32 v9, vcc, v9, v14
	s_nop 1
	v_subb_co_u32_e64 v14, s[2:3], v15, v16, vcc
	v_subrev_co_u32_e64 v15, s[2:3], s16, v9
	v_subb_co_u32_e32 v7, vcc, v7, v11, vcc
	s_nop 0
	v_subbrev_co_u32_e64 v14, s[2:3], 0, v14, s[2:3]
	v_cmp_le_u32_e64 s[2:3], s17, v14
	v_cmp_le_u32_e32 vcc, s17, v7
	s_nop 0
	v_cndmask_b32_e64 v16, 0, -1, s[2:3]
	v_cmp_le_u32_e64 s[2:3], s16, v15
	v_cndmask_b32_e64 v11, 0, -1, vcc
	v_cmp_le_u32_e32 vcc, s16, v9
	v_cndmask_b32_e64 v15, 0, -1, s[2:3]
	v_cmp_eq_u32_e64 s[2:3], s17, v14
	v_cndmask_b32_e64 v9, 0, -1, vcc
	v_cmp_eq_u32_e32 vcc, s17, v7
	v_cndmask_b32_e64 v18, v16, v15, s[2:3]
	v_lshl_add_u64 v[14:15], v[12:13], 0, 2
	v_lshl_add_u64 v[16:17], v[12:13], 0, 1
	v_cmp_ne_u32_e64 s[2:3], 0, v18
	v_cndmask_b32_e32 v7, v11, v9, vcc
	v_cmp_ne_u32_e32 vcc, 0, v7
	v_cndmask_b32_e64 v9, v16, v14, s[2:3]
	v_cndmask_b32_e64 v15, v17, v15, s[2:3]
	v_cndmask_b32_e32 v9, v12, v9, vcc
	v_xor_b32_e32 v11, s14, v10
	v_cndmask_b32_e32 v7, v13, v15, vcc
	v_xor_b32_e32 v9, v9, v11
	v_xor_b32_e32 v7, v7, v11
	v_sub_co_u32_e32 v10, vcc, v9, v11
	s_nop 1
	v_subb_co_u32_e32 v11, vcc, v7, v11, vcc
.LBB35_8:
	s_or_saveexec_b64 s[2:3], s[4:5]
	s_load_dword s4, s[6:7], 0x0
	s_xor_b64 exec, exec, s[2:3]
	s_cbranch_execz .LBB35_10
; %bb.9:
	v_cvt_f32_u32_e32 v7, s10
	s_sub_i32 s5, 0, s10
	v_rcp_iflag_f32_e32 v7, v7
	s_nop 0
	v_mul_f32_e32 v7, 0x4f7ffffe, v7
	v_cvt_u32_f32_e32 v7, v7
	v_mul_lo_u32 v9, s5, v7
	v_mul_hi_u32 v9, v7, v9
	v_add_u32_e32 v7, v7, v9
	v_mul_hi_u32 v7, v4, v7
	v_mul_lo_u32 v9, v7, s10
	v_sub_u32_e32 v9, v4, v9
	v_add_u32_e32 v10, 1, v7
	v_subrev_u32_e32 v11, s10, v9
	v_cmp_le_u32_e32 vcc, s10, v9
	s_nop 1
	v_cndmask_b32_e32 v9, v9, v11, vcc
	v_cndmask_b32_e32 v7, v7, v10, vcc
	v_add_u32_e32 v10, 1, v7
	v_cmp_le_u32_e32 vcc, s10, v9
	v_mov_b32_e32 v11, 0
	s_nop 0
	v_cndmask_b32_e32 v10, v7, v10, vcc
.LBB35_10:
	s_or_b64 exec, exec, s[2:3]
	s_load_dwordx2 s[2:3], s[0:1], 0x20
	s_load_dword s5, s[0:1], 0x28
	v_lshlrev_b64 v[2:3], 2, v[2:3]
	s_load_dwordx8 s[24:31], s[0:1], 0x0
	v_mul_lo_u32 v23, v11, s10
	s_waitcnt lgkmcnt(0)
	v_lshl_add_u64 v[12:13], s[2:3], 0, v[2:3]
	global_load_dword v24, v[12:13], off
	v_mul_lo_u32 v25, v10, s11
	v_mad_u64_u32 v[14:15], s[0:1], v10, s10, 0
	v_ashrrev_i32_e32 v13, 31, v6
                                        ; implicit-def: $vgpr27
	v_add3_u32 v15, v15, v25, v23
	v_sub_co_u32_e32 v14, vcc, v4, v14
	v_mul_lo_u32 v20, v6, s19
	v_mad_u64_u32 v[16:17], s[0:1], v6, s18, 0
	v_mul_lo_u32 v26, v6, s21
	v_mad_u64_u32 v[6:7], s[0:1], v6, s20, 0
	v_mul_lo_u32 v27, v13, s18
	v_mul_lo_u32 v13, v13, s20
	v_subb_co_u32_e32 v15, vcc, v5, v15, vcc
	v_mul_lo_u32 v21, v11, s12
	v_mul_lo_u32 v22, v10, s13
	v_mad_u64_u32 v[18:19], s[0:1], v10, s12, 0
	v_add3_u32 v7, v7, v26, v13
	v_add_f32_e64 v26, s5, -1.0
	v_add3_u32 v19, v19, v22, v21
	v_mul_lo_u32 v22, v14, s9
	v_mad_u64_u32 v[4:5], s[0:1], v14, s8, v[10:11]
	v_mul_lo_u32 v13, v14, s13
	v_mad_u64_u32 v[10:11], s[0:1], v14, s12, 0
	v_mul_lo_u32 v14, v15, s8
	v_add3_u32 v14, v14, v5, v22
	v_add3_u32 v17, v17, v20, v27
	v_mul_lo_u32 v25, v4, s13
	v_mad_u64_u32 v[20:21], s[0:1], v4, s12, 0
	v_mul_lo_u32 v4, v15, s12
	v_mul_lo_u32 v15, v14, s12
	s_mov_b32 s19, 0x3f2aaaab
	v_add3_u32 v21, v21, v25, v15
	v_add3_u32 v11, v11, v13, v4
	v_mov_b32_e32 v4, s28
	v_mov_b32_e32 v5, s29
	v_lshl_add_u64 v[2:3], s[26:27], 0, v[2:3]
	global_load_dword v14, v[2:3], off
	v_lshl_add_u64 v[2:3], v[16:17], 2, v[4:5]
	v_mov_b32_e32 v22, s30
	v_mov_b32_e32 v23, s31
	v_lshl_add_u64 v[6:7], v[6:7], 2, v[22:23]
	v_mul_lo_u32 v9, s12, v8
	v_mov_b32_e32 v8, 0
	v_ashrrev_i64 v[8:9], 30, v[8:9]
	v_lshl_add_u64 v[2:3], v[18:19], 2, v[2:3]
	v_lshl_add_u64 v[8:9], s[24:25], 0, v[8:9]
	;; [unrolled: 1-line block ×3, first 2 shown]
	v_mov_b32_e32 v12, 0x3e91f4c4
	s_mov_b32 s18, 0x3f317218
	s_movk_i32 s20, 0x204
	s_mov_b32 s22, 0x42b17218
	s_mov_b32 s23, 0x3fb8aa3b
	;; [unrolled: 1-line block ×4, first 2 shown]
	s_brev_b32 s8, -2
	s_mul_i32 s10, s4, s33
	v_add_f32_e64 v13, s5, -2.0
	v_lshlrev_b64 v[0:1], 2, v[0:1]
	s_ashr_i32 s11, s10, 31
	v_lshl_add_u64 v[6:7], v[10:11], 2, v[6:7]
	v_lshl_add_u64 v[8:9], s[12:13], 2, v[2:3]
	;; [unrolled: 1-line block ×3, first 2 shown]
	s_lshl_b64 s[12:13], s[10:11], 2
	s_mov_b64 s[14:15], 0
	s_waitcnt vmcnt(1)
	v_cmp_neq_f32_e32 vcc, 1.0, v24
	s_nop 1
	v_cndmask_b32_e32 v30, 1.0, v26, vcc
	v_cmp_neq_f32_e32 vcc, 0, v30
	v_cmp_neq_f32_e64 s[0:1], 0, v24
	v_cmp_neq_f32_e64 s[4:5], v30, |v30|
	v_cndmask_b32_e32 v31, 1.0, v24, vcc
	v_frexp_mant_f32_e64 v15, |v31|
	v_cmp_gt_f32_e32 vcc, s19, v15
	v_cmp_lt_f32_e64 s[6:7], |v31|, 1.0
	s_xor_b64 s[4:5], s[4:5], s[6:7]
	v_cndmask_b32_e64 v16, 1.0, 2.0, vcc
	v_mul_f32_e32 v15, v15, v16
	v_add_f32_e32 v16, 1.0, v15
	v_rcp_f32_e32 v22, v16
	v_add_f32_e32 v17, -1.0, v15
	v_add_f32_e32 v18, -1.0, v16
	v_sub_f32_e32 v15, v15, v18
	v_mul_f32_e32 v23, v17, v22
	v_mul_f32_e32 v18, v16, v23
	v_fma_f32 v20, v23, v16, -v18
	v_fmac_f32_e32 v20, v23, v15
	v_add_f32_e32 v16, v18, v20
	v_sub_f32_e32 v19, v17, v16
	v_mov_b32_e32 v21, v16
	v_pk_add_f32 v[16:17], v[16:17], v[18:19] neg_lo:[0,1] neg_hi:[0,1]
	s_nop 0
	v_pk_add_f32 v[16:17], v[16:17], v[20:21] neg_lo:[0,1] neg_hi:[0,1]
	s_nop 0
	v_add_f32_e32 v15, v16, v17
	v_add_f32_e32 v15, v19, v15
	v_mul_f32_e32 v15, v22, v15
	v_add_f32_e32 v16, v23, v15
	v_sub_f32_e32 v17, v16, v23
	v_mul_f32_e32 v19, v16, v16
	v_sub_f32_e32 v15, v15, v17
	v_fma_f32 v17, v16, v16, -v19
	v_add_f32_e32 v18, v15, v15
	v_fmac_f32_e32 v17, v16, v18
	v_add_f32_e32 v18, v19, v17
	v_fmamk_f32 v20, v18, 0x3e76c4e1, v12
	v_sub_f32_e32 v19, v18, v19
	v_fmaak_f32 v20, v18, v20, 0x3ecccdef
	v_sub_f32_e32 v26, v17, v19
	v_mul_f32_e32 v17, v18, v20
	v_fma_f32 v19, v18, v20, -v17
	v_fmac_f32_e32 v19, v26, v20
	v_add_f32_e32 v20, v17, v19
	v_add_f32_e32 v21, 0x3f2aaaaa, v20
	v_sub_f32_e32 v17, v20, v17
	v_sub_f32_e32 v17, v19, v17
	v_add_f32_e32 v19, 0xbf2aaaaa, v21
	v_add_f32_e32 v17, 0x31739010, v17
	v_sub_f32_e32 v19, v20, v19
	v_pk_mul_f32 v[22:23], v[16:17], v[18:19]
	v_pk_add_f32 v[24:25], v[16:17], v[18:19]
	v_fma_f32 v20, v18, v16, -v22
	v_fmac_f32_e32 v20, v18, v15
	v_mov_b32_e32 v23, v25
	v_fmac_f32_e32 v20, v26, v16
	v_pk_add_f32 v[18:19], v[22:23], v[20:21]
	v_ldexp_f32 v15, v15, 1
	v_sub_f32_e32 v21, v21, v19
	v_sub_f32_e32 v17, v18, v22
	v_pk_mul_f32 v[22:23], v[18:19], v[18:19] op_sel:[0,1] op_sel_hi:[1,0]
	v_add_f32_e32 v21, v25, v21
	v_cvt_f64_f32_e64 v[24:25], |v31|
	v_frexp_exp_i32_f64_e32 v23, v[24:25]
	v_subbrev_co_u32_e32 v23, vcc, 0, v23, vcc
	v_cvt_f32_i32_e32 v23, v23
	v_sub_f32_e32 v17, v20, v17
	v_fma_f32 v20, v18, v19, -v22
	v_fmac_f32_e32 v20, v18, v21
	v_mul_f32_e32 v18, 0x3f317218, v23
	v_fmac_f32_e32 v20, v17, v19
	v_fma_f32 v24, v23, s18, -v18
	v_fmac_f32_e32 v24, 0xb102e308, v23
	v_ldexp_f32 v25, v16, 1
	v_add_f32_e32 v19, v22, v20
	v_pk_add_f32 v[16:17], v[18:19], v[24:25]
	v_mov_b32_e32 v26, v19
	v_mov_b32_e32 v27, v17
	;; [unrolled: 1-line block ×3, first 2 shown]
	v_pk_add_f32 v[22:23], v[26:27], v[22:23] neg_lo:[0,1] neg_hi:[0,1]
	v_mov_b32_e32 v21, v19
	v_pk_add_f32 v[20:21], v[20:21], v[22:23] neg_lo:[0,1] neg_hi:[0,1]
	v_mov_b32_e32 v25, v16
	v_add_f32_e32 v15, v15, v20
	v_add_f32_e32 v19, v15, v21
	v_pk_add_f32 v[20:21], v[16:17], v[18:19] neg_lo:[0,1] neg_hi:[0,1]
	v_pk_add_f32 v[22:23], v[16:17], v[18:19]
	v_mov_b32_e32 v18, v19
	v_mov_b32_e32 v21, v23
	v_pk_add_f32 v[26:27], v[24:25], v[20:21] neg_lo:[0,1] neg_hi:[0,1]
	v_pk_add_f32 v[20:21], v[24:25], v[20:21]
	v_mov_b32_e32 v19, v16
	v_pk_add_f32 v[24:25], v[20:21], v[16:17] op_sel:[1,0] op_sel_hi:[0,1] neg_lo:[0,1] neg_hi:[0,1]
	v_pk_add_f32 v[28:29], v[22:23], v[24:25] op_sel_hi:[1,0] neg_lo:[0,1] neg_hi:[0,1]
	v_mov_b32_e32 v22, v23
	v_mov_b32_e32 v23, v21
	v_pk_mov_b32 v[24:25], v[16:17], v[24:25] op_sel:[1,0]
	v_mov_b32_e32 v28, v26
	v_pk_add_f32 v[22:23], v[22:23], v[24:25] neg_lo:[0,1] neg_hi:[0,1]
	v_mov_b32_e32 v27, v21
	v_pk_add_f32 v[16:17], v[18:19], v[22:23] neg_lo:[0,1] neg_hi:[0,1]
	s_nop 0
	v_pk_add_f32 v[18:19], v[28:29], v[16:17]
	s_nop 0
	v_pk_add_f32 v[22:23], v[18:19], v[18:19] op_sel:[0,1] op_sel_hi:[1,0]
	s_nop 0
	v_pk_add_f32 v[20:21], v[20:21], v[22:23] op_sel:[1,0] op_sel_hi:[0,1]
	v_mov_b32_e32 v19, v20
	v_pk_add_f32 v[24:25], v[18:19], v[26:27] neg_lo:[0,1] neg_hi:[0,1]
	v_mov_b32_e32 v17, v22
	v_sub_f32_e32 v15, v18, v24
	v_pk_add_f32 v[16:17], v[16:17], v[24:25] neg_lo:[0,1] neg_hi:[0,1]
	v_sub_f32_e32 v15, v26, v15
	v_add_f32_e32 v15, v16, v15
	v_add_f32_e32 v15, v15, v17
	;; [unrolled: 1-line block ×3, first 2 shown]
	v_sub_f32_e32 v17, v16, v20
	v_sub_f32_e32 v15, v15, v17
	v_mul_f32_e32 v17, v30, v16
	v_fma_f32 v16, v30, v16, -v17
	v_fmac_f32_e32 v16, v30, v15
	v_add_f32_e32 v15, v17, v16
	v_cmp_class_f32_e64 vcc, v17, s20
	v_sub_f32_e32 v18, v15, v17
	v_sub_f32_e32 v16, v16, v18
	v_cndmask_b32_e32 v17, v15, v17, vcc
	v_mov_b32_e32 v15, 0x37000000
	v_cmp_eq_f32_e32 vcc, s22, v17
	s_nop 1
	v_cndmask_b32_e32 v18, 0, v15, vcc
	v_sub_f32_e32 v19, v17, v18
	v_mul_f32_e32 v20, 0x3fb8aa3b, v19
	v_fma_f32 v21, v19, s23, -v20
	v_rndne_f32_e32 v22, v20
	v_fmac_f32_e32 v21, 0x32a5705f, v19
	v_sub_f32_e32 v20, v20, v22
	v_add_f32_e32 v20, v20, v21
	v_exp_f32_e32 v20, v20
	v_cvt_i32_f32_e32 v21, v22
	v_cmp_neq_f32_e64 vcc, |v17|, s21
	s_nop 1
	v_cndmask_b32_e32 v16, 0, v16, vcc
	v_add_f32_e32 v17, v18, v16
	v_ldexp_f32 v16, v20, v21
	v_cmp_ngt_f32_e32 vcc, s24, v19
	s_nop 1
	v_cndmask_b32_e32 v18, 0, v16, vcc
	v_mov_b32_e32 v16, 0x7f800000
	v_cmp_nlt_f32_e32 vcc, s22, v19
	v_trunc_f32_e32 v19, v30
	s_nop 0
	v_cndmask_b32_e32 v18, v16, v18, vcc
	v_fma_f32 v17, v18, v17, v18
	v_cmp_class_f32_e64 vcc, v18, s20
	s_nop 1
	v_cndmask_b32_e32 v18, v17, v18, vcc
	v_cmp_eq_f32_e32 vcc, v19, v30
	v_mul_f32_e32 v19, 0.5, v30
	v_trunc_f32_e32 v20, v19
	v_cmp_neq_f32_e64 s[2:3], v20, v19
	s_and_b64 s[2:3], vcc, s[2:3]
	v_mov_b32_e32 v17, 0x7fc00000
	v_cndmask_b32_e64 v19, 1.0, v31, s[2:3]
	v_bfi_b32 v18, s8, v18, v19
	v_cndmask_b32_e32 v19, v17, v18, vcc
	v_cmp_gt_f32_e32 vcc, 0, v31
	v_cndmask_b32_e64 v20, 0, v31, s[2:3]
	s_nop 0
	v_cndmask_b32_e32 v18, v18, v19, vcc
	v_cndmask_b32_e64 v19, v16, 0, s[4:5]
	v_cmp_neq_f32_e64 vcc, |v31|, 1.0
	s_nop 1
	v_cndmask_b32_e32 v19, 1.0, v19, vcc
	v_cmp_class_f32_e64 vcc, v30, s20
	s_nop 1
	v_cndmask_b32_e32 v18, v18, v19, vcc
	v_cmp_gt_f32_e32 vcc, 0, v30
	s_nop 1
	v_cndmask_b32_e64 v19, v16, 0, vcc
	v_bfi_b32 v19, s8, v19, v20
	v_cmp_class_f32_e64 vcc, v31, s20
	s_nop 1
	v_cndmask_b32_e32 v18, v18, v19, vcc
	v_cmp_o_f32_e32 vcc, v31, v30
	s_nop 1
	v_cndmask_b32_e32 v18, v17, v18, vcc
	s_branch .LBB35_12
.LBB35_11:                              ;   in Loop: Header=BB35_12 Depth=1
	s_or_b64 exec, exec, s[16:17]
	v_lshl_add_u64 v[10:11], s[10:11], 2, v[10:11]
	v_cmp_ge_u64_e32 vcc, v[10:11], v[8:9]
	v_lshl_add_u64 v[20:21], v[4:5], 0, v[0:1]
	s_or_b64 s[14:15], vcc, s[14:15]
	v_lshl_add_u64 v[0:1], v[0:1], 0, s[12:13]
	global_store_dword v[20:21], v19, off
	s_andn2_b64 exec, exec, s[14:15]
	s_cbranch_execz .LBB35_14
.LBB35_12:                              ; =>This Inner Loop Header: Depth=1
	v_mov_b32_e32 v19, 0
	s_and_saveexec_b64 s[16:17], s[0:1]
	s_cbranch_execz .LBB35_11
; %bb.13:                               ;   in Loop: Header=BB35_12 Depth=1
	v_lshl_add_u64 v[22:23], v[2:3], 0, v[0:1]
	v_lshl_add_u64 v[20:21], v[6:7], 0, v[0:1]
	global_load_dword v19, v[22:23], off
	global_load_dword v24, v[20:21], off
	s_waitcnt vmcnt(0)
	v_sub_f32_e32 v19, v19, v24
	v_cmp_neq_f32_e64 vcc, |v19|, 1.0
	s_nop 1
	v_cndmask_b32_e32 v20, 1.0, v13, vcc
	v_cmp_neq_f32_e32 vcc, 0, v20
	v_cmp_gt_f32_e64 s[4:5], 0, v20
	v_cmp_neq_f32_e64 s[26:27], v20, |v20|
	v_cndmask_b32_e64 v21, 1.0, |v19|, vcc
	v_frexp_mant_f32_e32 v24, v21
	v_cmp_gt_f32_e64 s[8:9], s19, v24
	v_cvt_f64_f32_e32 v[22:23], v21
	v_cmp_eq_f32_e64 s[2:3], 0, v21
	v_cndmask_b32_e64 v25, 1.0, 2.0, s[8:9]
	v_mul_f32_e32 v24, v24, v25
	v_add_f32_e32 v25, 1.0, v24
	v_cmp_gt_f32_e64 s[6:7], 1.0, v21
	v_frexp_exp_i32_f64_e32 v22, v[22:23]
	s_xor_b64 s[4:5], s[4:5], s[2:3]
	v_rcp_f32_e32 v27, v25
	s_xor_b64 s[6:7], s[26:27], s[6:7]
	v_cndmask_b32_e64 v36, v16, 0, s[4:5]
	v_subbrev_co_u32_e64 v22, s[4:5], 0, v22, s[8:9]
	v_cndmask_b32_e64 v23, v16, 0, s[6:7]
	v_cmp_neq_f32_e64 s[4:5], 1.0, v21
	v_cvt_f32_i32_e32 v22, v22
	v_add_f32_e32 v26, -1.0, v25
	v_cndmask_b32_e64 v37, 1.0, v23, s[4:5]
	v_add_f32_e32 v23, -1.0, v24
	v_mul_f32_e32 v32, v23, v27
	v_mul_f32_e32 v28, v25, v32
	v_sub_f32_e32 v29, v24, v26
	v_mul_f32_e32 v24, 0x3f317218, v22
	v_fma_f32 v30, v32, v25, -v28
	v_fma_f32 v26, v22, s18, -v24
	v_fmac_f32_e32 v30, v32, v29
	v_fmac_f32_e32 v26, 0xb102e308, v22
	v_add_f32_e32 v22, v28, v30
	v_sub_f32_e32 v29, v23, v22
	v_mov_b32_e32 v31, v22
	v_pk_add_f32 v[22:23], v[22:23], v[28:29] neg_lo:[0,1] neg_hi:[0,1]
	v_cmp_eq_f32_e32 vcc, s21, v21
	v_pk_add_f32 v[22:23], v[22:23], v[30:31] neg_lo:[0,1] neg_hi:[0,1]
	s_or_b64 vcc, s[2:3], vcc
	v_add_f32_e32 v22, v22, v23
	v_add_f32_e32 v22, v29, v22
	v_mul_f32_e32 v23, v27, v22
	v_add_f32_e32 v22, v32, v23
	v_sub_f32_e32 v25, v22, v32
	v_mul_f32_e32 v29, v22, v22
	v_sub_f32_e32 v25, v23, v25
	v_fma_f32 v23, v22, v22, -v29
	v_add_f32_e32 v28, v25, v25
	v_fmac_f32_e32 v23, v22, v28
	v_add_f32_e32 v28, v29, v23
	v_fmamk_f32 v30, v28, 0x3e76c4e1, v12
	v_sub_f32_e32 v29, v28, v29
	v_fmaak_f32 v30, v28, v30, 0x3ecccdef
	v_sub_f32_e32 v39, v23, v29
	v_mul_f32_e32 v23, v28, v30
	v_fma_f32 v29, v28, v30, -v23
	v_fmac_f32_e32 v29, v39, v30
	v_add_f32_e32 v30, v23, v29
	v_add_f32_e32 v31, 0x3f2aaaaa, v30
	v_sub_f32_e32 v23, v30, v23
	v_sub_f32_e32 v23, v29, v23
	v_add_f32_e32 v29, 0xbf2aaaaa, v31
	v_add_f32_e32 v23, 0x31739010, v23
	v_sub_f32_e32 v29, v30, v29
	v_pk_mul_f32 v[32:33], v[22:23], v[28:29]
	v_pk_add_f32 v[34:35], v[22:23], v[28:29]
	v_fma_f32 v30, v28, v22, -v32
	v_fmac_f32_e32 v30, v28, v25
	v_mov_b32_e32 v33, v35
	v_fmac_f32_e32 v30, v39, v22
	v_ldexp_f32 v27, v22, 1
	v_pk_add_f32 v[22:23], v[32:33], v[30:31]
	v_ldexp_f32 v38, v25, 1
	v_sub_f32_e32 v25, v22, v32
	v_sub_f32_e32 v31, v31, v23
	v_pk_mul_f32 v[28:29], v[22:23], v[22:23] op_sel:[0,1] op_sel_hi:[1,0]
	v_sub_f32_e32 v25, v30, v25
	v_add_f32_e32 v31, v35, v31
	v_fma_f32 v30, v22, v23, -v28
	v_fmac_f32_e32 v30, v22, v31
	v_fmac_f32_e32 v30, v25, v23
	v_add_f32_e32 v25, v28, v30
	v_pk_add_f32 v[22:23], v[24:25], v[26:27]
	v_mov_b32_e32 v29, v27
	v_mov_b32_e32 v32, v25
	;; [unrolled: 1-line block ×4, first 2 shown]
	v_pk_add_f32 v[28:29], v[32:33], v[28:29] neg_lo:[0,1] neg_hi:[0,1]
	v_mov_b32_e32 v27, v22
	v_pk_add_f32 v[28:29], v[30:31], v[28:29] neg_lo:[0,1] neg_hi:[0,1]
	v_mov_b32_e32 v35, v22
	v_add_f32_e32 v25, v38, v28
	v_add_f32_e32 v25, v25, v29
	v_pk_add_f32 v[28:29], v[22:23], v[24:25] neg_lo:[0,1] neg_hi:[0,1]
	v_pk_add_f32 v[30:31], v[22:23], v[24:25]
	v_mov_b32_e32 v34, v25
	v_mov_b32_e32 v29, v31
	v_pk_add_f32 v[32:33], v[26:27], v[28:29] neg_lo:[0,1] neg_hi:[0,1]
	v_pk_add_f32 v[26:27], v[26:27], v[28:29]
	v_mov_b32_e32 v24, v31
	v_pk_add_f32 v[28:29], v[26:27], v[22:23] op_sel:[1,0] op_sel_hi:[0,1] neg_lo:[0,1] neg_hi:[0,1]
	v_mov_b32_e32 v25, v27
	v_pk_mov_b32 v[22:23], v[22:23], v[28:29] op_sel:[1,0]
	v_pk_add_f32 v[30:31], v[30:31], v[28:29] op_sel_hi:[1,0] neg_lo:[0,1] neg_hi:[0,1]
	v_pk_add_f32 v[22:23], v[24:25], v[22:23] neg_lo:[0,1] neg_hi:[0,1]
	v_mov_b32_e32 v30, v32
	v_pk_add_f32 v[22:23], v[34:35], v[22:23] neg_lo:[0,1] neg_hi:[0,1]
	v_mov_b32_e32 v33, v27
	v_pk_add_f32 v[24:25], v[30:31], v[22:23]
	s_nop 0
	v_pk_add_f32 v[28:29], v[24:25], v[24:25] op_sel:[0,1] op_sel_hi:[1,0]
	s_nop 0
	v_pk_add_f32 v[26:27], v[26:27], v[28:29] op_sel:[1,0] op_sel_hi:[0,1]
	v_mov_b32_e32 v25, v26
	v_mov_b32_e32 v23, v28
	v_pk_add_f32 v[28:29], v[24:25], v[32:33] neg_lo:[0,1] neg_hi:[0,1]
	s_nop 0
	v_sub_f32_e32 v24, v24, v28
	v_pk_add_f32 v[22:23], v[22:23], v[28:29] neg_lo:[0,1] neg_hi:[0,1]
	v_sub_f32_e32 v24, v32, v24
	v_add_f32_e32 v22, v22, v24
	v_add_f32_e32 v22, v22, v23
	;; [unrolled: 1-line block ×3, first 2 shown]
	v_sub_f32_e32 v24, v23, v26
	v_mul_f32_e32 v25, v20, v23
	v_sub_f32_e32 v22, v22, v24
	v_fma_f32 v23, v20, v23, -v25
	v_fmac_f32_e32 v23, v20, v22
	v_add_f32_e32 v22, v25, v23
	v_cmp_class_f32_e64 s[4:5], v25, s20
	v_sub_f32_e32 v24, v22, v25
	v_sub_f32_e32 v23, v23, v24
	v_cndmask_b32_e64 v22, v22, v25, s[4:5]
	v_cmp_eq_f32_e64 s[4:5], s22, v22
	s_nop 1
	v_cndmask_b32_e64 v24, 0, v15, s[4:5]
	v_sub_f32_e32 v25, v22, v24
	v_mul_f32_e32 v26, 0x3fb8aa3b, v25
	v_fma_f32 v27, v25, s23, -v26
	v_rndne_f32_e32 v28, v26
	v_fmac_f32_e32 v27, 0x32a5705f, v25
	v_sub_f32_e32 v26, v26, v28
	v_add_f32_e32 v26, v26, v27
	v_cvt_i32_f32_e32 v28, v28
	v_exp_f32_e32 v26, v26
	v_cmp_neq_f32_e64 s[4:5], |v22|, s21
	s_nop 1
	v_cndmask_b32_e64 v22, 0, v23, s[4:5]
	v_ldexp_f32 v23, v26, v28
	v_cmp_ngt_f32_e64 s[4:5], s24, v25
	v_add_f32_e32 v22, v24, v22
	s_nop 0
	v_cndmask_b32_e64 v23, 0, v23, s[4:5]
	v_cmp_nlt_f32_e64 s[4:5], s22, v25
	s_nop 1
	v_cndmask_b32_e64 v23, v16, v23, s[4:5]
	v_fma_f32 v22, v23, v22, v23
	v_cmp_class_f32_e64 s[4:5], v23, s20
	s_nop 1
	v_cndmask_b32_e64 v22, v22, v23, s[4:5]
	v_cmp_class_f32_e64 s[4:5], v20, s20
	s_nop 1
	v_cndmask_b32_e64 v22, |v22|, v37, s[4:5]
	v_cndmask_b32_e32 v22, v22, v36, vcc
	v_cmp_o_f32_e32 vcc, v21, v20
	s_nop 1
	v_cndmask_b32_e32 v20, v17, v22, vcc
	v_mul_f32_e32 v19, v19, v20
	v_mul_f32_e32 v19, v14, v19
	v_div_scale_f32 v20, s[2:3], v18, v18, v19
	v_rcp_f32_e32 v21, v20
	v_div_scale_f32 v22, vcc, v19, v18, v19
	v_fma_f32 v23, -v20, v21, 1.0
	v_fmac_f32_e32 v21, v23, v21
	v_mul_f32_e32 v23, v22, v21
	v_fma_f32 v24, -v20, v23, v22
	v_fmac_f32_e32 v23, v24, v21
	v_fma_f32 v20, -v20, v23, v22
	v_div_fmas_f32 v20, v20, v21, v23
	v_div_fixup_f32 v19, v20, v18, v19
	s_branch .LBB35_11
.LBB35_14:
	s_endpgm
	.section	.rodata,"a",@progbits
	.p2align	6, 0x0
	.amdhsa_kernel _ZN2at6native12_GLOBAL__N_131cdist_backward_kernel_cuda_implIfNS1_5distsIfE1pEEEvPT_PKS6_S9_S9_S9_S6_lllllll
		.amdhsa_group_segment_fixed_size 0
		.amdhsa_private_segment_fixed_size 0
		.amdhsa_kernarg_size 360
		.amdhsa_user_sgpr_count 2
		.amdhsa_user_sgpr_dispatch_ptr 0
		.amdhsa_user_sgpr_queue_ptr 0
		.amdhsa_user_sgpr_kernarg_segment_ptr 1
		.amdhsa_user_sgpr_dispatch_id 0
		.amdhsa_user_sgpr_kernarg_preload_length 0
		.amdhsa_user_sgpr_kernarg_preload_offset 0
		.amdhsa_user_sgpr_private_segment_size 0
		.amdhsa_uses_dynamic_stack 0
		.amdhsa_enable_private_segment 0
		.amdhsa_system_sgpr_workgroup_id_x 1
		.amdhsa_system_sgpr_workgroup_id_y 1
		.amdhsa_system_sgpr_workgroup_id_z 1
		.amdhsa_system_sgpr_workgroup_info 0
		.amdhsa_system_vgpr_workitem_id 1
		.amdhsa_next_free_vgpr 40
		.amdhsa_next_free_sgpr 34
		.amdhsa_accum_offset 40
		.amdhsa_reserve_vcc 1
		.amdhsa_float_round_mode_32 0
		.amdhsa_float_round_mode_16_64 0
		.amdhsa_float_denorm_mode_32 3
		.amdhsa_float_denorm_mode_16_64 3
		.amdhsa_dx10_clamp 1
		.amdhsa_ieee_mode 1
		.amdhsa_fp16_overflow 0
		.amdhsa_tg_split 0
		.amdhsa_exception_fp_ieee_invalid_op 0
		.amdhsa_exception_fp_denorm_src 0
		.amdhsa_exception_fp_ieee_div_zero 0
		.amdhsa_exception_fp_ieee_overflow 0
		.amdhsa_exception_fp_ieee_underflow 0
		.amdhsa_exception_fp_ieee_inexact 0
		.amdhsa_exception_int_div_zero 0
	.end_amdhsa_kernel
	.section	.text._ZN2at6native12_GLOBAL__N_131cdist_backward_kernel_cuda_implIfNS1_5distsIfE1pEEEvPT_PKS6_S9_S9_S9_S6_lllllll,"axG",@progbits,_ZN2at6native12_GLOBAL__N_131cdist_backward_kernel_cuda_implIfNS1_5distsIfE1pEEEvPT_PKS6_S9_S9_S9_S6_lllllll,comdat
.Lfunc_end35:
	.size	_ZN2at6native12_GLOBAL__N_131cdist_backward_kernel_cuda_implIfNS1_5distsIfE1pEEEvPT_PKS6_S9_S9_S9_S6_lllllll, .Lfunc_end35-_ZN2at6native12_GLOBAL__N_131cdist_backward_kernel_cuda_implIfNS1_5distsIfE1pEEEvPT_PKS6_S9_S9_S9_S6_lllllll
                                        ; -- End function
	.set _ZN2at6native12_GLOBAL__N_131cdist_backward_kernel_cuda_implIfNS1_5distsIfE1pEEEvPT_PKS6_S9_S9_S9_S6_lllllll.num_vgpr, 40
	.set _ZN2at6native12_GLOBAL__N_131cdist_backward_kernel_cuda_implIfNS1_5distsIfE1pEEEvPT_PKS6_S9_S9_S9_S6_lllllll.num_agpr, 0
	.set _ZN2at6native12_GLOBAL__N_131cdist_backward_kernel_cuda_implIfNS1_5distsIfE1pEEEvPT_PKS6_S9_S9_S9_S6_lllllll.numbered_sgpr, 34
	.set _ZN2at6native12_GLOBAL__N_131cdist_backward_kernel_cuda_implIfNS1_5distsIfE1pEEEvPT_PKS6_S9_S9_S9_S6_lllllll.num_named_barrier, 0
	.set _ZN2at6native12_GLOBAL__N_131cdist_backward_kernel_cuda_implIfNS1_5distsIfE1pEEEvPT_PKS6_S9_S9_S9_S6_lllllll.private_seg_size, 0
	.set _ZN2at6native12_GLOBAL__N_131cdist_backward_kernel_cuda_implIfNS1_5distsIfE1pEEEvPT_PKS6_S9_S9_S9_S6_lllllll.uses_vcc, 1
	.set _ZN2at6native12_GLOBAL__N_131cdist_backward_kernel_cuda_implIfNS1_5distsIfE1pEEEvPT_PKS6_S9_S9_S9_S6_lllllll.uses_flat_scratch, 0
	.set _ZN2at6native12_GLOBAL__N_131cdist_backward_kernel_cuda_implIfNS1_5distsIfE1pEEEvPT_PKS6_S9_S9_S9_S6_lllllll.has_dyn_sized_stack, 0
	.set _ZN2at6native12_GLOBAL__N_131cdist_backward_kernel_cuda_implIfNS1_5distsIfE1pEEEvPT_PKS6_S9_S9_S9_S6_lllllll.has_recursion, 0
	.set _ZN2at6native12_GLOBAL__N_131cdist_backward_kernel_cuda_implIfNS1_5distsIfE1pEEEvPT_PKS6_S9_S9_S9_S6_lllllll.has_indirect_call, 0
	.section	.AMDGPU.csdata,"",@progbits
; Kernel info:
; codeLenInByte = 4452
; TotalNumSgprs: 40
; NumVgprs: 40
; NumAgprs: 0
; TotalNumVgprs: 40
; ScratchSize: 0
; MemoryBound: 0
; FloatMode: 240
; IeeeMode: 1
; LDSByteSize: 0 bytes/workgroup (compile time only)
; SGPRBlocks: 4
; VGPRBlocks: 4
; NumSGPRsForWavesPerEU: 40
; NumVGPRsForWavesPerEU: 40
; AccumOffset: 40
; Occupancy: 8
; WaveLimiterHint : 0
; COMPUTE_PGM_RSRC2:SCRATCH_EN: 0
; COMPUTE_PGM_RSRC2:USER_SGPR: 2
; COMPUTE_PGM_RSRC2:TRAP_HANDLER: 0
; COMPUTE_PGM_RSRC2:TGID_X_EN: 1
; COMPUTE_PGM_RSRC2:TGID_Y_EN: 1
; COMPUTE_PGM_RSRC2:TGID_Z_EN: 1
; COMPUTE_PGM_RSRC2:TIDIG_COMP_CNT: 1
; COMPUTE_PGM_RSRC3_GFX90A:ACCUM_OFFSET: 9
; COMPUTE_PGM_RSRC3_GFX90A:TG_SPLIT: 0
	.section	.text._ZN2at6native12_GLOBAL__N_131cdist_backward_kernel_cuda_implIfNS1_5distsIfE3oneEEEvPT_PKS6_S9_S9_S9_S6_lllllll,"axG",@progbits,_ZN2at6native12_GLOBAL__N_131cdist_backward_kernel_cuda_implIfNS1_5distsIfE3oneEEEvPT_PKS6_S9_S9_S9_S6_lllllll,comdat
	.globl	_ZN2at6native12_GLOBAL__N_131cdist_backward_kernel_cuda_implIfNS1_5distsIfE3oneEEEvPT_PKS6_S9_S9_S9_S6_lllllll ; -- Begin function _ZN2at6native12_GLOBAL__N_131cdist_backward_kernel_cuda_implIfNS1_5distsIfE3oneEEEvPT_PKS6_S9_S9_S9_S6_lllllll
	.p2align	8
	.type	_ZN2at6native12_GLOBAL__N_131cdist_backward_kernel_cuda_implIfNS1_5distsIfE3oneEEEvPT_PKS6_S9_S9_S9_S6_lllllll,@function
_ZN2at6native12_GLOBAL__N_131cdist_backward_kernel_cuda_implIfNS1_5distsIfE3oneEEEvPT_PKS6_S9_S9_S9_S6_lllllll: ; @_ZN2at6native12_GLOBAL__N_131cdist_backward_kernel_cuda_implIfNS1_5distsIfE3oneEEEvPT_PKS6_S9_S9_S9_S6_lllllll
; %bb.0:
	s_load_dwordx2 s[24:25], s[0:1], 0x70
	s_load_dwordx8 s[8:15], s[0:1], 0x30
	s_add_u32 s6, s0, 0x68
	s_addc_u32 s7, s1, 0
	v_bfe_u32 v1, v0, 10, 10
	s_waitcnt lgkmcnt(0)
	s_mul_i32 s3, s24, s3
	s_add_i32 s3, s3, s4
	s_lshr_b32 s4, s25, 16
	s_mul_i32 s3, s3, s4
	v_add_u32_e32 v2, s3, v1
	v_ashrrev_i32_e32 v3, 31, v2
	v_cmp_gt_i64_e32 vcc, s[14:15], v[2:3]
	s_and_saveexec_b64 s[4:5], vcc
	s_cbranch_execz .LBB36_12
; %bb.1:
	s_load_dwordx8 s[16:23], s[0:1], 0x50
	s_and_b32 s24, s25, 0xffff
	s_mul_i32 s2, s2, s24
	v_and_b32_e32 v0, 0x3ff, v0
	v_add_u32_e32 v0, s2, v0
	v_ashrrev_i32_e32 v1, 31, v0
	v_cmp_gt_i64_e32 vcc, s[12:13], v[0:1]
	s_and_b64 exec, exec, vcc
	s_cbranch_execz .LBB36_12
; %bb.2:
	s_waitcnt lgkmcnt(0)
	v_or_b32_e32 v7, s17, v3
	v_mov_b32_e32 v6, 0
	v_cmp_ne_u64_e32 vcc, 0, v[6:7]
                                        ; implicit-def: $vgpr4_vgpr5
	s_and_saveexec_b64 s[2:3], vcc
	s_xor_b64 s[4:5], exec, s[2:3]
	s_cbranch_execz .LBB36_4
; %bb.3:
	s_ashr_i32 s14, s17, 31
	s_add_u32 s2, s16, s14
	s_mov_b32 s15, s14
	s_addc_u32 s3, s17, s14
	s_xor_b64 s[22:23], s[2:3], s[14:15]
	v_cvt_f32_u32_e32 v4, s22
	v_cvt_f32_u32_e32 v5, s23
	s_sub_u32 s15, 0, s22
	s_subb_u32 s25, 0, s23
	v_mov_b32_e32 v11, v6
	v_fmamk_f32 v4, v5, 0x4f800000, v4
	v_rcp_f32_e32 v4, v4
	s_nop 0
	v_mul_f32_e32 v4, 0x5f7ffffc, v4
	v_mul_f32_e32 v5, 0x2f800000, v4
	v_trunc_f32_e32 v5, v5
	v_fmamk_f32 v4, v5, 0xcf800000, v4
	v_cvt_u32_f32_e32 v5, v5
	v_cvt_u32_f32_e32 v4, v4
	v_readfirstlane_b32 s26, v5
	v_readfirstlane_b32 s2, v4
	s_mul_i32 s3, s15, s26
	s_mul_hi_u32 s28, s15, s2
	s_mul_i32 s27, s25, s2
	s_add_i32 s3, s28, s3
	s_add_i32 s3, s3, s27
	s_mul_i32 s29, s15, s2
	s_mul_i32 s28, s2, s3
	s_mul_hi_u32 s30, s2, s29
	s_mul_hi_u32 s27, s2, s3
	s_add_u32 s28, s30, s28
	s_addc_u32 s27, 0, s27
	s_mul_hi_u32 s31, s26, s29
	s_mul_i32 s29, s26, s29
	s_add_u32 s28, s28, s29
	s_mul_hi_u32 s30, s26, s3
	s_addc_u32 s27, s27, s31
	s_addc_u32 s28, s30, 0
	s_mul_i32 s3, s26, s3
	s_add_u32 s3, s27, s3
	s_addc_u32 s27, 0, s28
	s_add_u32 s28, s2, s3
	s_cselect_b64 s[2:3], -1, 0
	s_cmp_lg_u64 s[2:3], 0
	s_addc_u32 s26, s26, s27
	s_mul_i32 s2, s15, s26
	s_mul_hi_u32 s3, s15, s28
	s_add_i32 s2, s3, s2
	s_mul_i32 s25, s25, s28
	s_add_i32 s2, s2, s25
	s_mul_i32 s15, s15, s28
	s_mul_hi_u32 s25, s26, s15
	s_mul_i32 s27, s26, s15
	s_mul_i32 s30, s28, s2
	s_mul_hi_u32 s15, s28, s15
	s_mul_hi_u32 s29, s28, s2
	s_add_u32 s15, s15, s30
	s_addc_u32 s29, 0, s29
	s_add_u32 s15, s15, s27
	s_mul_hi_u32 s3, s26, s2
	s_addc_u32 s15, s29, s25
	s_addc_u32 s3, s3, 0
	s_mul_i32 s2, s26, s2
	s_add_u32 s2, s15, s2
	s_addc_u32 s15, 0, s3
	s_add_u32 s25, s28, s2
	v_ashrrev_i32_e32 v4, 31, v3
	s_cselect_b64 s[2:3], -1, 0
	v_mov_b32_e32 v5, v4
	s_cmp_lg_u64 s[2:3], 0
	v_lshl_add_u64 v[8:9], v[2:3], 0, v[4:5]
	s_addc_u32 s15, s26, s15
	v_xor_b32_e32 v14, v8, v4
	v_xor_b32_e32 v5, v9, v4
	v_mad_u64_u32 v[8:9], s[2:3], v14, s15, 0
	v_mul_hi_u32 v10, v14, s25
	v_lshl_add_u64 v[8:9], v[10:11], 0, v[8:9]
	v_mad_u64_u32 v[12:13], s[2:3], v5, s25, 0
	v_add_co_u32_e32 v7, vcc, v8, v12
	v_mad_u64_u32 v[10:11], s[2:3], v5, s15, 0
	s_nop 0
	v_addc_co_u32_e32 v8, vcc, v9, v13, vcc
	v_mov_b32_e32 v9, v6
	s_nop 0
	v_addc_co_u32_e32 v11, vcc, 0, v11, vcc
	v_lshl_add_u64 v[6:7], v[8:9], 0, v[10:11]
	v_mul_lo_u32 v10, s23, v6
	v_mul_lo_u32 v11, s22, v7
	v_mad_u64_u32 v[8:9], s[2:3], s22, v6, 0
	v_add3_u32 v12, v9, v11, v10
	v_sub_u32_e32 v9, v5, v12
	v_mov_b32_e32 v10, s23
	v_sub_co_u32_e32 v13, vcc, v14, v8
	s_nop 1
	v_subb_co_u32_e64 v8, s[2:3], v9, v10, vcc
	v_subrev_co_u32_e64 v9, s[2:3], s22, v13
	v_subb_co_u32_e32 v5, vcc, v5, v12, vcc
	s_nop 0
	v_subbrev_co_u32_e64 v8, s[2:3], 0, v8, s[2:3]
	v_cmp_le_u32_e64 s[2:3], s23, v8
	v_cmp_le_u32_e32 vcc, s23, v5
	s_nop 0
	v_cndmask_b32_e64 v10, 0, -1, s[2:3]
	v_cmp_le_u32_e64 s[2:3], s22, v9
	s_nop 1
	v_cndmask_b32_e64 v9, 0, -1, s[2:3]
	v_cmp_eq_u32_e64 s[2:3], s23, v8
	s_nop 1
	v_cndmask_b32_e64 v14, v10, v9, s[2:3]
	v_lshl_add_u64 v[8:9], v[6:7], 0, 2
	v_lshl_add_u64 v[10:11], v[6:7], 0, 1
	v_cmp_ne_u32_e64 s[2:3], 0, v14
	s_nop 1
	v_cndmask_b32_e64 v9, v11, v9, s[2:3]
	v_cndmask_b32_e64 v11, 0, -1, vcc
	v_cmp_le_u32_e32 vcc, s22, v13
	s_nop 1
	v_cndmask_b32_e64 v12, 0, -1, vcc
	v_cmp_eq_u32_e32 vcc, s23, v5
	s_nop 1
	v_cndmask_b32_e32 v5, v11, v12, vcc
	v_cmp_ne_u32_e32 vcc, 0, v5
	s_nop 1
	v_cndmask_b32_e32 v5, v7, v9, vcc
	v_cndmask_b32_e64 v7, v10, v8, s[2:3]
	v_cndmask_b32_e32 v6, v6, v7, vcc
	v_xor_b32_e32 v7, s14, v4
	v_xor_b32_e32 v4, v6, v7
	;; [unrolled: 1-line block ×3, first 2 shown]
	v_sub_co_u32_e32 v4, vcc, v4, v7
	s_nop 1
	v_subb_co_u32_e32 v5, vcc, v5, v7, vcc
.LBB36_4:
	s_andn2_saveexec_b64 s[2:3], s[4:5]
	s_cbranch_execz .LBB36_6
; %bb.5:
	v_cvt_f32_u32_e32 v4, s16
	s_sub_i32 s4, 0, s16
	v_rcp_iflag_f32_e32 v4, v4
	s_nop 0
	v_mul_f32_e32 v4, 0x4f7ffffe, v4
	v_cvt_u32_f32_e32 v4, v4
	v_mul_lo_u32 v5, s4, v4
	v_mul_hi_u32 v5, v4, v5
	v_add_u32_e32 v4, v4, v5
	v_mul_hi_u32 v4, v2, v4
	v_mul_lo_u32 v5, v4, s16
	v_sub_u32_e32 v5, v2, v5
	v_add_u32_e32 v6, 1, v4
	v_subrev_u32_e32 v7, s16, v5
	v_cmp_le_u32_e32 vcc, s16, v5
	s_nop 1
	v_cndmask_b32_e32 v5, v5, v7, vcc
	v_cndmask_b32_e32 v4, v4, v6, vcc
	v_add_u32_e32 v6, 1, v4
	v_cmp_le_u32_e32 vcc, s16, v5
	v_mov_b32_e32 v5, 0
	s_nop 0
	v_cndmask_b32_e32 v4, v4, v6, vcc
.LBB36_6:
	s_or_b64 exec, exec, s[2:3]
	v_mul_lo_u32 v5, v5, s16
	v_mul_lo_u32 v6, v4, s17
	v_mad_u64_u32 v[8:9], s[2:3], v4, s16, 0
	v_add3_u32 v5, v9, v6, v5
	v_sub_co_u32_e32 v6, vcc, v2, v8
	v_mov_b32_e32 v10, 0
	s_nop 0
	v_subb_co_u32_e32 v7, vcc, v3, v5, vcc
	v_or_b32_e32 v11, s11, v7
	v_cmp_ne_u64_e32 vcc, 0, v[10:11]
                                        ; implicit-def: $vgpr14_vgpr15
	s_and_saveexec_b64 s[2:3], vcc
	s_xor_b64 s[4:5], exec, s[2:3]
	s_cbranch_execz .LBB36_8
; %bb.7:
	s_ashr_i32 s14, s11, 31
	s_add_u32 s2, s10, s14
	s_mov_b32 s15, s14
	s_addc_u32 s3, s11, s14
	s_xor_b64 s[16:17], s[2:3], s[14:15]
	v_cvt_f32_u32_e32 v5, s16
	v_cvt_f32_u32_e32 v9, s17
	s_sub_u32 s15, 0, s16
	s_subb_u32 s22, 0, s17
	v_ashrrev_i32_e32 v12, 31, v7
	v_fmamk_f32 v5, v9, 0x4f800000, v5
	v_rcp_f32_e32 v5, v5
	v_mov_b32_e32 v13, v12
	v_lshl_add_u64 v[14:15], v[6:7], 0, v[12:13]
	v_mov_b32_e32 v17, v10
	v_mul_f32_e32 v5, 0x5f7ffffc, v5
	v_mul_f32_e32 v9, 0x2f800000, v5
	v_trunc_f32_e32 v9, v9
	v_fmamk_f32 v5, v9, 0xcf800000, v5
	v_cvt_u32_f32_e32 v9, v9
	v_cvt_u32_f32_e32 v5, v5
	v_readfirstlane_b32 s23, v9
	v_readfirstlane_b32 s2, v5
	s_mul_i32 s3, s15, s23
	s_mul_hi_u32 s26, s15, s2
	s_mul_i32 s25, s22, s2
	s_add_i32 s3, s26, s3
	s_add_i32 s3, s3, s25
	s_mul_i32 s27, s15, s2
	s_mul_i32 s26, s2, s3
	s_mul_hi_u32 s28, s2, s27
	s_mul_hi_u32 s25, s2, s3
	s_add_u32 s26, s28, s26
	s_addc_u32 s25, 0, s25
	s_mul_hi_u32 s29, s23, s27
	s_mul_i32 s27, s23, s27
	s_add_u32 s26, s26, s27
	s_mul_hi_u32 s28, s23, s3
	s_addc_u32 s25, s25, s29
	s_addc_u32 s26, s28, 0
	s_mul_i32 s3, s23, s3
	s_add_u32 s3, s25, s3
	s_addc_u32 s25, 0, s26
	s_add_u32 s26, s2, s3
	s_cselect_b64 s[2:3], -1, 0
	s_cmp_lg_u64 s[2:3], 0
	s_addc_u32 s23, s23, s25
	s_mul_i32 s2, s15, s23
	s_mul_hi_u32 s3, s15, s26
	s_add_i32 s2, s3, s2
	s_mul_i32 s22, s22, s26
	s_add_i32 s2, s2, s22
	s_mul_i32 s15, s15, s26
	s_mul_hi_u32 s22, s23, s15
	s_mul_i32 s25, s23, s15
	s_mul_i32 s28, s26, s2
	s_mul_hi_u32 s15, s26, s15
	s_mul_hi_u32 s27, s26, s2
	s_add_u32 s15, s15, s28
	s_addc_u32 s27, 0, s27
	s_add_u32 s15, s15, s25
	s_mul_hi_u32 s3, s23, s2
	s_addc_u32 s15, s27, s22
	s_addc_u32 s3, s3, 0
	s_mul_i32 s2, s23, s2
	s_add_u32 s2, s15, s2
	s_addc_u32 s15, 0, s3
	s_add_u32 s22, s26, s2
	s_cselect_b64 s[2:3], -1, 0
	s_cmp_lg_u64 s[2:3], 0
	s_addc_u32 s15, s23, s15
	v_xor_b32_e32 v9, v14, v12
	v_xor_b32_e32 v5, v15, v12
	v_mad_u64_u32 v[14:15], s[2:3], v9, s15, 0
	v_mul_hi_u32 v16, v9, s22
	v_lshl_add_u64 v[14:15], v[16:17], 0, v[14:15]
	v_mad_u64_u32 v[18:19], s[2:3], v5, s22, 0
	v_add_co_u32_e32 v11, vcc, v14, v18
	v_mad_u64_u32 v[16:17], s[2:3], v5, s15, 0
	s_nop 0
	v_addc_co_u32_e32 v14, vcc, v15, v19, vcc
	v_mov_b32_e32 v15, v10
	s_nop 0
	v_addc_co_u32_e32 v17, vcc, 0, v17, vcc
	v_lshl_add_u64 v[10:11], v[14:15], 0, v[16:17]
	v_mul_lo_u32 v13, s17, v10
	v_mul_lo_u32 v16, s16, v11
	v_mad_u64_u32 v[14:15], s[2:3], s16, v10, 0
	v_add3_u32 v13, v15, v16, v13
	v_sub_u32_e32 v15, v5, v13
	v_mov_b32_e32 v16, s17
	v_sub_co_u32_e32 v9, vcc, v9, v14
	s_nop 1
	v_subb_co_u32_e64 v14, s[2:3], v15, v16, vcc
	v_subrev_co_u32_e64 v15, s[2:3], s16, v9
	v_subb_co_u32_e32 v5, vcc, v5, v13, vcc
	s_nop 0
	v_subbrev_co_u32_e64 v14, s[2:3], 0, v14, s[2:3]
	v_cmp_le_u32_e64 s[2:3], s17, v14
	v_cmp_le_u32_e32 vcc, s17, v5
	s_nop 0
	v_cndmask_b32_e64 v16, 0, -1, s[2:3]
	v_cmp_le_u32_e64 s[2:3], s16, v15
	v_cndmask_b32_e64 v13, 0, -1, vcc
	v_cmp_le_u32_e32 vcc, s16, v9
	v_cndmask_b32_e64 v15, 0, -1, s[2:3]
	v_cmp_eq_u32_e64 s[2:3], s17, v14
	v_cndmask_b32_e64 v9, 0, -1, vcc
	v_cmp_eq_u32_e32 vcc, s17, v5
	v_cndmask_b32_e64 v18, v16, v15, s[2:3]
	v_lshl_add_u64 v[14:15], v[10:11], 0, 2
	v_lshl_add_u64 v[16:17], v[10:11], 0, 1
	v_cmp_ne_u32_e64 s[2:3], 0, v18
	v_cndmask_b32_e32 v5, v13, v9, vcc
	v_cmp_ne_u32_e32 vcc, 0, v5
	v_cndmask_b32_e64 v9, v16, v14, s[2:3]
	v_cndmask_b32_e64 v15, v17, v15, s[2:3]
	v_cndmask_b32_e32 v9, v10, v9, vcc
	v_xor_b32_e32 v10, s14, v12
	v_cndmask_b32_e32 v5, v11, v15, vcc
	v_xor_b32_e32 v9, v9, v10
	v_xor_b32_e32 v5, v5, v10
	v_sub_co_u32_e32 v14, vcc, v9, v10
	s_nop 1
	v_subb_co_u32_e32 v15, vcc, v5, v10, vcc
.LBB36_8:
	s_or_saveexec_b64 s[2:3], s[4:5]
	s_load_dword s4, s[6:7], 0x0
	s_xor_b64 exec, exec, s[2:3]
	s_cbranch_execz .LBB36_10
; %bb.9:
	v_cvt_f32_u32_e32 v5, s10
	s_sub_i32 s5, 0, s10
	v_mov_b32_e32 v15, 0
	v_rcp_iflag_f32_e32 v5, v5
	s_nop 0
	v_mul_f32_e32 v5, 0x4f7ffffe, v5
	v_cvt_u32_f32_e32 v5, v5
	v_mul_lo_u32 v9, s5, v5
	v_mul_hi_u32 v9, v5, v9
	v_add_u32_e32 v5, v5, v9
	v_mul_hi_u32 v5, v6, v5
	v_mul_lo_u32 v9, v5, s10
	v_sub_u32_e32 v9, v6, v9
	v_add_u32_e32 v10, 1, v5
	v_subrev_u32_e32 v11, s10, v9
	v_cmp_le_u32_e32 vcc, s10, v9
	s_nop 1
	v_cndmask_b32_e32 v9, v9, v11, vcc
	v_cndmask_b32_e32 v5, v5, v10, vcc
	v_add_u32_e32 v10, 1, v5
	v_cmp_le_u32_e32 vcc, s10, v9
	s_nop 1
	v_cndmask_b32_e32 v14, v5, v10, vcc
.LBB36_10:
	s_or_b64 exec, exec, s[2:3]
	s_load_dwordx8 s[36:43], s[0:1], 0x0
	v_mul_lo_u32 v19, s12, v8
	v_mul_lo_u32 v8, v15, s10
	;; [unrolled: 1-line block ×3, first 2 shown]
	v_mad_u64_u32 v[20:21], s[0:1], v14, s10, 0
	s_waitcnt lgkmcnt(0)
	v_mov_b32_e32 v10, s38
	v_mov_b32_e32 v11, s39
	v_lshl_add_u64 v[2:3], v[2:3], 2, v[10:11]
	global_load_dword v9, v[2:3], off
	v_add3_u32 v8, v21, v22, v8
	v_sub_co_u32_e32 v20, vcc, v6, v20
	v_ashrrev_i32_e32 v5, 31, v4
	s_nop 0
	v_subb_co_u32_e32 v8, vcc, v7, v8, vcc
	v_mul_lo_u32 v12, v4, s19
	v_mul_lo_u32 v13, v5, s18
	v_mad_u64_u32 v[10:11], s[0:1], v4, s18, 0
	v_mul_lo_u32 v21, v20, s9
	v_mul_lo_u32 v22, v8, s8
	v_mad_u64_u32 v[6:7], s[0:1], v20, s8, v[14:15]
	v_mov_b32_e32 v2, s40
	v_mov_b32_e32 v3, s41
	v_add3_u32 v11, v11, v12, v13
	v_add3_u32 v7, v22, v7, v21
	v_lshl_add_u64 v[2:3], v[10:11], 2, v[2:3]
	v_mul_lo_u32 v12, v15, s12
	v_mul_lo_u32 v13, v14, s13
	v_mad_u64_u32 v[10:11], s[0:1], v14, s12, 0
	v_mul_lo_u32 v14, v7, s12
	v_mul_lo_u32 v15, v6, s13
	v_mad_u64_u32 v[6:7], s[0:1], v6, s12, 0
	v_add3_u32 v7, v7, v15, v14
	v_mul_lo_u32 v14, v4, s21
	v_mul_lo_u32 v15, v5, s20
	v_mad_u64_u32 v[4:5], s[0:1], v4, s20, 0
	v_mov_b32_e32 v16, s42
	v_mov_b32_e32 v17, s43
	;; [unrolled: 1-line block ×3, first 2 shown]
	v_add3_u32 v5, v5, v14, v15
	v_mad_u64_u32 v[14:15], s[0:1], v20, s12, 0
	v_add3_u32 v11, v11, v13, v12
	v_ashrrev_i64 v[18:19], 30, v[18:19]
	v_lshl_add_u64 v[4:5], v[4:5], 2, v[16:17]
	v_mul_lo_u32 v8, v8, s12
	v_mul_lo_u32 v16, v20, s13
	s_mul_i32 s0, s4, s24
	v_lshl_add_u64 v[2:3], v[10:11], 2, v[2:3]
	v_lshlrev_b64 v[0:1], 2, v[0:1]
	v_lshl_add_u64 v[18:19], s[36:37], 0, v[18:19]
	v_add3_u32 v15, v15, v16, v8
	s_ashr_i32 s1, s0, 31
	v_lshl_add_u64 v[10:11], s[12:13], 2, v[2:3]
	v_lshl_add_u64 v[12:13], v[2:3], 0, v[0:1]
	;; [unrolled: 1-line block ×4, first 2 shown]
	s_lshl_b64 s[2:3], s[0:1], 2
	s_mov_b64 s[4:5], 0
.LBB36_11:                              ; =>This Inner Loop Header: Depth=1
	v_lshl_add_u64 v[16:17], v[2:3], 0, v[0:1]
	v_lshl_add_u64 v[14:15], v[4:5], 0, v[0:1]
	global_load_dword v8, v[16:17], off
	global_load_dword v18, v[14:15], off
	v_lshl_add_u64 v[12:13], s[0:1], 2, v[12:13]
	v_lshl_add_u64 v[14:15], v[6:7], 0, v[0:1]
	;; [unrolled: 1-line block ×3, first 2 shown]
	s_waitcnt vmcnt(0)
	v_sub_f32_e32 v8, v8, v18
	v_cmp_lt_f32_e32 vcc, 0, v8
	s_nop 1
	v_cndmask_b32_e64 v16, 0, 1, vcc
	v_cmp_gt_f32_e32 vcc, 0, v8
	s_nop 1
	v_subbrev_co_u32_e32 v8, vcc, 0, v16, vcc
	v_cvt_f32_i32_e32 v8, v8
	v_cmp_ge_u64_e32 vcc, v[12:13], v[10:11]
	s_or_b64 s[4:5], vcc, s[4:5]
	v_mul_f32_e32 v8, v9, v8
	global_store_dword v[14:15], v8, off
	s_andn2_b64 exec, exec, s[4:5]
	s_cbranch_execnz .LBB36_11
.LBB36_12:
	s_endpgm
	.section	.rodata,"a",@progbits
	.p2align	6, 0x0
	.amdhsa_kernel _ZN2at6native12_GLOBAL__N_131cdist_backward_kernel_cuda_implIfNS1_5distsIfE3oneEEEvPT_PKS6_S9_S9_S9_S6_lllllll
		.amdhsa_group_segment_fixed_size 0
		.amdhsa_private_segment_fixed_size 0
		.amdhsa_kernarg_size 360
		.amdhsa_user_sgpr_count 2
		.amdhsa_user_sgpr_dispatch_ptr 0
		.amdhsa_user_sgpr_queue_ptr 0
		.amdhsa_user_sgpr_kernarg_segment_ptr 1
		.amdhsa_user_sgpr_dispatch_id 0
		.amdhsa_user_sgpr_kernarg_preload_length 0
		.amdhsa_user_sgpr_kernarg_preload_offset 0
		.amdhsa_user_sgpr_private_segment_size 0
		.amdhsa_uses_dynamic_stack 0
		.amdhsa_enable_private_segment 0
		.amdhsa_system_sgpr_workgroup_id_x 1
		.amdhsa_system_sgpr_workgroup_id_y 1
		.amdhsa_system_sgpr_workgroup_id_z 1
		.amdhsa_system_sgpr_workgroup_info 0
		.amdhsa_system_vgpr_workitem_id 1
		.amdhsa_next_free_vgpr 23
		.amdhsa_next_free_sgpr 44
		.amdhsa_accum_offset 24
		.amdhsa_reserve_vcc 1
		.amdhsa_float_round_mode_32 0
		.amdhsa_float_round_mode_16_64 0
		.amdhsa_float_denorm_mode_32 3
		.amdhsa_float_denorm_mode_16_64 3
		.amdhsa_dx10_clamp 1
		.amdhsa_ieee_mode 1
		.amdhsa_fp16_overflow 0
		.amdhsa_tg_split 0
		.amdhsa_exception_fp_ieee_invalid_op 0
		.amdhsa_exception_fp_denorm_src 0
		.amdhsa_exception_fp_ieee_div_zero 0
		.amdhsa_exception_fp_ieee_overflow 0
		.amdhsa_exception_fp_ieee_underflow 0
		.amdhsa_exception_fp_ieee_inexact 0
		.amdhsa_exception_int_div_zero 0
	.end_amdhsa_kernel
	.section	.text._ZN2at6native12_GLOBAL__N_131cdist_backward_kernel_cuda_implIfNS1_5distsIfE3oneEEEvPT_PKS6_S9_S9_S9_S6_lllllll,"axG",@progbits,_ZN2at6native12_GLOBAL__N_131cdist_backward_kernel_cuda_implIfNS1_5distsIfE3oneEEEvPT_PKS6_S9_S9_S9_S6_lllllll,comdat
.Lfunc_end36:
	.size	_ZN2at6native12_GLOBAL__N_131cdist_backward_kernel_cuda_implIfNS1_5distsIfE3oneEEEvPT_PKS6_S9_S9_S9_S6_lllllll, .Lfunc_end36-_ZN2at6native12_GLOBAL__N_131cdist_backward_kernel_cuda_implIfNS1_5distsIfE3oneEEEvPT_PKS6_S9_S9_S9_S6_lllllll
                                        ; -- End function
	.set _ZN2at6native12_GLOBAL__N_131cdist_backward_kernel_cuda_implIfNS1_5distsIfE3oneEEEvPT_PKS6_S9_S9_S9_S6_lllllll.num_vgpr, 23
	.set _ZN2at6native12_GLOBAL__N_131cdist_backward_kernel_cuda_implIfNS1_5distsIfE3oneEEEvPT_PKS6_S9_S9_S9_S6_lllllll.num_agpr, 0
	.set _ZN2at6native12_GLOBAL__N_131cdist_backward_kernel_cuda_implIfNS1_5distsIfE3oneEEEvPT_PKS6_S9_S9_S9_S6_lllllll.numbered_sgpr, 44
	.set _ZN2at6native12_GLOBAL__N_131cdist_backward_kernel_cuda_implIfNS1_5distsIfE3oneEEEvPT_PKS6_S9_S9_S9_S6_lllllll.num_named_barrier, 0
	.set _ZN2at6native12_GLOBAL__N_131cdist_backward_kernel_cuda_implIfNS1_5distsIfE3oneEEEvPT_PKS6_S9_S9_S9_S6_lllllll.private_seg_size, 0
	.set _ZN2at6native12_GLOBAL__N_131cdist_backward_kernel_cuda_implIfNS1_5distsIfE3oneEEEvPT_PKS6_S9_S9_S9_S6_lllllll.uses_vcc, 1
	.set _ZN2at6native12_GLOBAL__N_131cdist_backward_kernel_cuda_implIfNS1_5distsIfE3oneEEEvPT_PKS6_S9_S9_S9_S6_lllllll.uses_flat_scratch, 0
	.set _ZN2at6native12_GLOBAL__N_131cdist_backward_kernel_cuda_implIfNS1_5distsIfE3oneEEEvPT_PKS6_S9_S9_S9_S6_lllllll.has_dyn_sized_stack, 0
	.set _ZN2at6native12_GLOBAL__N_131cdist_backward_kernel_cuda_implIfNS1_5distsIfE3oneEEEvPT_PKS6_S9_S9_S9_S6_lllllll.has_recursion, 0
	.set _ZN2at6native12_GLOBAL__N_131cdist_backward_kernel_cuda_implIfNS1_5distsIfE3oneEEEvPT_PKS6_S9_S9_S9_S6_lllllll.has_indirect_call, 0
	.section	.AMDGPU.csdata,"",@progbits
; Kernel info:
; codeLenInByte = 2284
; TotalNumSgprs: 50
; NumVgprs: 23
; NumAgprs: 0
; TotalNumVgprs: 23
; ScratchSize: 0
; MemoryBound: 0
; FloatMode: 240
; IeeeMode: 1
; LDSByteSize: 0 bytes/workgroup (compile time only)
; SGPRBlocks: 6
; VGPRBlocks: 2
; NumSGPRsForWavesPerEU: 50
; NumVGPRsForWavesPerEU: 23
; AccumOffset: 24
; Occupancy: 8
; WaveLimiterHint : 0
; COMPUTE_PGM_RSRC2:SCRATCH_EN: 0
; COMPUTE_PGM_RSRC2:USER_SGPR: 2
; COMPUTE_PGM_RSRC2:TRAP_HANDLER: 0
; COMPUTE_PGM_RSRC2:TGID_X_EN: 1
; COMPUTE_PGM_RSRC2:TGID_Y_EN: 1
; COMPUTE_PGM_RSRC2:TGID_Z_EN: 1
; COMPUTE_PGM_RSRC2:TIDIG_COMP_CNT: 1
; COMPUTE_PGM_RSRC3_GFX90A:ACCUM_OFFSET: 5
; COMPUTE_PGM_RSRC3_GFX90A:TG_SPLIT: 0
	.section	.text._ZN2at6native12_GLOBAL__N_131cdist_backward_kernel_cuda_implIfNS1_5distsIfE6lt_twoEEEvPT_PKS6_S9_S9_S9_S6_lllllll,"axG",@progbits,_ZN2at6native12_GLOBAL__N_131cdist_backward_kernel_cuda_implIfNS1_5distsIfE6lt_twoEEEvPT_PKS6_S9_S9_S9_S6_lllllll,comdat
	.globl	_ZN2at6native12_GLOBAL__N_131cdist_backward_kernel_cuda_implIfNS1_5distsIfE6lt_twoEEEvPT_PKS6_S9_S9_S9_S6_lllllll ; -- Begin function _ZN2at6native12_GLOBAL__N_131cdist_backward_kernel_cuda_implIfNS1_5distsIfE6lt_twoEEEvPT_PKS6_S9_S9_S9_S6_lllllll
	.p2align	8
	.type	_ZN2at6native12_GLOBAL__N_131cdist_backward_kernel_cuda_implIfNS1_5distsIfE6lt_twoEEEvPT_PKS6_S9_S9_S9_S6_lllllll,@function
_ZN2at6native12_GLOBAL__N_131cdist_backward_kernel_cuda_implIfNS1_5distsIfE6lt_twoEEEvPT_PKS6_S9_S9_S9_S6_lllllll: ; @_ZN2at6native12_GLOBAL__N_131cdist_backward_kernel_cuda_implIfNS1_5distsIfE6lt_twoEEEvPT_PKS6_S9_S9_S9_S6_lllllll
; %bb.0:
	s_load_dwordx2 s[24:25], s[0:1], 0x70
	s_load_dwordx8 s[8:15], s[0:1], 0x30
	s_add_u32 s6, s0, 0x68
	s_addc_u32 s7, s1, 0
	v_bfe_u32 v1, v0, 10, 10
	s_waitcnt lgkmcnt(0)
	s_mul_i32 s3, s24, s3
	s_add_i32 s3, s3, s4
	s_lshr_b32 s4, s25, 16
	s_mul_i32 s3, s3, s4
	v_add_u32_e32 v2, s3, v1
	v_ashrrev_i32_e32 v3, 31, v2
	v_cmp_gt_i64_e32 vcc, s[14:15], v[2:3]
	s_and_saveexec_b64 s[4:5], vcc
	s_cbranch_execz .LBB37_14
; %bb.1:
	s_load_dwordx8 s[16:23], s[0:1], 0x50
	s_and_b32 s33, s25, 0xffff
	s_mul_i32 s2, s2, s33
	v_and_b32_e32 v0, 0x3ff, v0
	v_add_u32_e32 v0, s2, v0
	v_ashrrev_i32_e32 v1, 31, v0
	v_cmp_gt_i64_e32 vcc, s[12:13], v[0:1]
	s_and_b64 exec, exec, vcc
	s_cbranch_execz .LBB37_14
; %bb.2:
	s_waitcnt lgkmcnt(0)
	v_or_b32_e32 v5, s17, v3
	v_mov_b32_e32 v4, 0
	v_cmp_ne_u64_e32 vcc, 0, v[4:5]
                                        ; implicit-def: $vgpr6_vgpr7
	s_and_saveexec_b64 s[2:3], vcc
	s_xor_b64 s[4:5], exec, s[2:3]
	s_cbranch_execz .LBB37_4
; %bb.3:
	s_ashr_i32 s14, s17, 31
	s_add_u32 s2, s16, s14
	s_mov_b32 s15, s14
	s_addc_u32 s3, s17, s14
	s_xor_b64 s[22:23], s[2:3], s[14:15]
	v_cvt_f32_u32_e32 v5, s22
	v_cvt_f32_u32_e32 v6, s23
	s_sub_u32 s15, 0, s22
	s_subb_u32 s24, 0, s23
	v_mov_b32_e32 v11, v4
	v_fmamk_f32 v5, v6, 0x4f800000, v5
	v_rcp_f32_e32 v5, v5
	s_nop 0
	v_mul_f32_e32 v5, 0x5f7ffffc, v5
	v_mul_f32_e32 v6, 0x2f800000, v5
	v_trunc_f32_e32 v6, v6
	v_fmamk_f32 v5, v6, 0xcf800000, v5
	v_cvt_u32_f32_e32 v6, v6
	v_cvt_u32_f32_e32 v5, v5
	v_readfirstlane_b32 s25, v6
	v_readfirstlane_b32 s2, v5
	s_mul_i32 s3, s15, s25
	s_mul_hi_u32 s27, s15, s2
	s_mul_i32 s26, s24, s2
	s_add_i32 s3, s27, s3
	s_add_i32 s3, s3, s26
	s_mul_i32 s28, s15, s2
	s_mul_i32 s27, s2, s3
	s_mul_hi_u32 s29, s2, s28
	s_mul_hi_u32 s26, s2, s3
	s_add_u32 s27, s29, s27
	s_addc_u32 s26, 0, s26
	s_mul_hi_u32 s30, s25, s28
	s_mul_i32 s28, s25, s28
	s_add_u32 s27, s27, s28
	s_mul_hi_u32 s29, s25, s3
	s_addc_u32 s26, s26, s30
	s_addc_u32 s27, s29, 0
	s_mul_i32 s3, s25, s3
	s_add_u32 s3, s26, s3
	s_addc_u32 s26, 0, s27
	s_add_u32 s27, s2, s3
	s_cselect_b64 s[2:3], -1, 0
	s_cmp_lg_u64 s[2:3], 0
	s_addc_u32 s25, s25, s26
	s_mul_i32 s2, s15, s25
	s_mul_hi_u32 s3, s15, s27
	s_add_i32 s2, s3, s2
	s_mul_i32 s24, s24, s27
	s_add_i32 s2, s2, s24
	s_mul_i32 s15, s15, s27
	s_mul_hi_u32 s24, s25, s15
	s_mul_i32 s26, s25, s15
	s_mul_i32 s29, s27, s2
	s_mul_hi_u32 s15, s27, s15
	s_mul_hi_u32 s28, s27, s2
	s_add_u32 s15, s15, s29
	s_addc_u32 s28, 0, s28
	s_add_u32 s15, s15, s26
	s_mul_hi_u32 s3, s25, s2
	s_addc_u32 s15, s28, s24
	s_addc_u32 s3, s3, 0
	s_mul_i32 s2, s25, s2
	s_add_u32 s2, s15, s2
	s_addc_u32 s15, 0, s3
	s_add_u32 s24, s27, s2
	v_ashrrev_i32_e32 v6, 31, v3
	s_cselect_b64 s[2:3], -1, 0
	v_mov_b32_e32 v7, v6
	s_cmp_lg_u64 s[2:3], 0
	v_lshl_add_u64 v[8:9], v[2:3], 0, v[6:7]
	s_addc_u32 s15, s25, s15
	v_xor_b32_e32 v14, v8, v6
	v_xor_b32_e32 v7, v9, v6
	v_mad_u64_u32 v[8:9], s[2:3], v14, s15, 0
	v_mul_hi_u32 v10, v14, s24
	v_lshl_add_u64 v[8:9], v[10:11], 0, v[8:9]
	v_mad_u64_u32 v[12:13], s[2:3], v7, s24, 0
	v_add_co_u32_e32 v5, vcc, v8, v12
	v_mad_u64_u32 v[10:11], s[2:3], v7, s15, 0
	s_nop 0
	v_addc_co_u32_e32 v8, vcc, v9, v13, vcc
	v_mov_b32_e32 v9, v4
	s_nop 0
	v_addc_co_u32_e32 v11, vcc, 0, v11, vcc
	v_lshl_add_u64 v[4:5], v[8:9], 0, v[10:11]
	v_mul_lo_u32 v10, s23, v4
	v_mul_lo_u32 v11, s22, v5
	v_mad_u64_u32 v[8:9], s[2:3], s22, v4, 0
	v_add3_u32 v12, v9, v11, v10
	v_sub_u32_e32 v9, v7, v12
	v_mov_b32_e32 v10, s23
	v_sub_co_u32_e32 v13, vcc, v14, v8
	s_nop 1
	v_subb_co_u32_e64 v8, s[2:3], v9, v10, vcc
	v_subrev_co_u32_e64 v9, s[2:3], s22, v13
	v_subb_co_u32_e32 v7, vcc, v7, v12, vcc
	s_nop 0
	v_subbrev_co_u32_e64 v8, s[2:3], 0, v8, s[2:3]
	v_cmp_le_u32_e64 s[2:3], s23, v8
	v_cmp_le_u32_e32 vcc, s23, v7
	s_nop 0
	v_cndmask_b32_e64 v10, 0, -1, s[2:3]
	v_cmp_le_u32_e64 s[2:3], s22, v9
	s_nop 1
	v_cndmask_b32_e64 v9, 0, -1, s[2:3]
	v_cmp_eq_u32_e64 s[2:3], s23, v8
	s_nop 1
	v_cndmask_b32_e64 v14, v10, v9, s[2:3]
	v_lshl_add_u64 v[8:9], v[4:5], 0, 2
	v_lshl_add_u64 v[10:11], v[4:5], 0, 1
	v_cmp_ne_u32_e64 s[2:3], 0, v14
	s_nop 1
	v_cndmask_b32_e64 v9, v11, v9, s[2:3]
	v_cndmask_b32_e64 v11, 0, -1, vcc
	v_cmp_le_u32_e32 vcc, s22, v13
	s_nop 1
	v_cndmask_b32_e64 v12, 0, -1, vcc
	v_cmp_eq_u32_e32 vcc, s23, v7
	s_nop 1
	v_cndmask_b32_e32 v7, v11, v12, vcc
	v_cmp_ne_u32_e32 vcc, 0, v7
	v_cndmask_b32_e64 v7, v10, v8, s[2:3]
	s_nop 0
	v_cndmask_b32_e32 v4, v4, v7, vcc
	v_xor_b32_e32 v7, s14, v6
	v_cndmask_b32_e32 v5, v5, v9, vcc
	v_xor_b32_e32 v4, v4, v7
	v_xor_b32_e32 v5, v5, v7
	v_sub_co_u32_e32 v6, vcc, v4, v7
	s_nop 1
	v_subb_co_u32_e32 v7, vcc, v5, v7, vcc
.LBB37_4:
	s_andn2_saveexec_b64 s[2:3], s[4:5]
	s_cbranch_execz .LBB37_6
; %bb.5:
	v_cvt_f32_u32_e32 v4, s16
	s_sub_i32 s4, 0, s16
	v_rcp_iflag_f32_e32 v4, v4
	s_nop 0
	v_mul_f32_e32 v4, 0x4f7ffffe, v4
	v_cvt_u32_f32_e32 v4, v4
	v_mul_lo_u32 v5, s4, v4
	v_mul_hi_u32 v5, v4, v5
	v_add_u32_e32 v4, v4, v5
	v_mul_hi_u32 v4, v2, v4
	v_mul_lo_u32 v5, v4, s16
	v_sub_u32_e32 v5, v2, v5
	v_add_u32_e32 v6, 1, v4
	v_subrev_u32_e32 v7, s16, v5
	v_cmp_le_u32_e32 vcc, s16, v5
	s_nop 1
	v_cndmask_b32_e32 v5, v5, v7, vcc
	v_cndmask_b32_e32 v4, v4, v6, vcc
	v_add_u32_e32 v6, 1, v4
	v_cmp_le_u32_e32 vcc, s16, v5
	v_mov_b32_e32 v7, 0
	s_nop 0
	v_cndmask_b32_e32 v6, v4, v6, vcc
.LBB37_6:
	s_or_b64 exec, exec, s[2:3]
	v_mul_lo_u32 v4, v7, s16
	v_mul_lo_u32 v5, v6, s17
	v_mad_u64_u32 v[8:9], s[2:3], v6, s16, 0
	v_add3_u32 v5, v9, v5, v4
	v_sub_co_u32_e32 v4, vcc, v2, v8
	v_mov_b32_e32 v12, 0
	s_nop 0
	v_subb_co_u32_e32 v5, vcc, v3, v5, vcc
	v_or_b32_e32 v13, s11, v5
	v_cmp_ne_u64_e32 vcc, 0, v[12:13]
                                        ; implicit-def: $vgpr10_vgpr11
	s_and_saveexec_b64 s[2:3], vcc
	s_xor_b64 s[4:5], exec, s[2:3]
	s_cbranch_execz .LBB37_8
; %bb.7:
	s_ashr_i32 s14, s11, 31
	s_add_u32 s2, s10, s14
	s_mov_b32 s15, s14
	s_addc_u32 s3, s11, s14
	s_xor_b64 s[16:17], s[2:3], s[14:15]
	v_cvt_f32_u32_e32 v7, s16
	v_cvt_f32_u32_e32 v9, s17
	s_sub_u32 s15, 0, s16
	s_subb_u32 s22, 0, s17
	v_ashrrev_i32_e32 v10, 31, v5
	v_fmamk_f32 v7, v9, 0x4f800000, v7
	v_rcp_f32_e32 v7, v7
	v_mov_b32_e32 v11, v10
	v_lshl_add_u64 v[14:15], v[4:5], 0, v[10:11]
	v_mov_b32_e32 v17, v12
	v_mul_f32_e32 v7, 0x5f7ffffc, v7
	v_mul_f32_e32 v9, 0x2f800000, v7
	v_trunc_f32_e32 v9, v9
	v_fmamk_f32 v7, v9, 0xcf800000, v7
	v_cvt_u32_f32_e32 v9, v9
	v_cvt_u32_f32_e32 v7, v7
	v_readfirstlane_b32 s23, v9
	v_readfirstlane_b32 s2, v7
	s_mul_i32 s3, s15, s23
	s_mul_hi_u32 s25, s15, s2
	s_mul_i32 s24, s22, s2
	s_add_i32 s3, s25, s3
	s_add_i32 s3, s3, s24
	s_mul_i32 s26, s15, s2
	s_mul_i32 s25, s2, s3
	s_mul_hi_u32 s27, s2, s26
	s_mul_hi_u32 s24, s2, s3
	s_add_u32 s25, s27, s25
	s_addc_u32 s24, 0, s24
	s_mul_hi_u32 s28, s23, s26
	s_mul_i32 s26, s23, s26
	s_add_u32 s25, s25, s26
	s_mul_hi_u32 s27, s23, s3
	s_addc_u32 s24, s24, s28
	s_addc_u32 s25, s27, 0
	s_mul_i32 s3, s23, s3
	s_add_u32 s3, s24, s3
	s_addc_u32 s24, 0, s25
	s_add_u32 s25, s2, s3
	s_cselect_b64 s[2:3], -1, 0
	s_cmp_lg_u64 s[2:3], 0
	s_addc_u32 s23, s23, s24
	s_mul_i32 s2, s15, s23
	s_mul_hi_u32 s3, s15, s25
	s_add_i32 s2, s3, s2
	s_mul_i32 s22, s22, s25
	s_add_i32 s2, s2, s22
	s_mul_i32 s15, s15, s25
	s_mul_hi_u32 s22, s23, s15
	s_mul_i32 s24, s23, s15
	s_mul_i32 s27, s25, s2
	s_mul_hi_u32 s15, s25, s15
	s_mul_hi_u32 s26, s25, s2
	s_add_u32 s15, s15, s27
	s_addc_u32 s26, 0, s26
	s_add_u32 s15, s15, s24
	s_mul_hi_u32 s3, s23, s2
	s_addc_u32 s15, s26, s22
	s_addc_u32 s3, s3, 0
	s_mul_i32 s2, s23, s2
	s_add_u32 s2, s15, s2
	s_addc_u32 s15, 0, s3
	s_add_u32 s22, s25, s2
	s_cselect_b64 s[2:3], -1, 0
	s_cmp_lg_u64 s[2:3], 0
	s_addc_u32 s15, s23, s15
	v_xor_b32_e32 v9, v14, v10
	v_xor_b32_e32 v7, v15, v10
	v_mad_u64_u32 v[14:15], s[2:3], v9, s15, 0
	v_mul_hi_u32 v16, v9, s22
	v_lshl_add_u64 v[14:15], v[16:17], 0, v[14:15]
	v_mad_u64_u32 v[18:19], s[2:3], v7, s22, 0
	v_add_co_u32_e32 v11, vcc, v14, v18
	v_mad_u64_u32 v[16:17], s[2:3], v7, s15, 0
	s_nop 0
	v_addc_co_u32_e32 v14, vcc, v15, v19, vcc
	v_mov_b32_e32 v15, v12
	s_nop 0
	v_addc_co_u32_e32 v17, vcc, 0, v17, vcc
	v_lshl_add_u64 v[12:13], v[14:15], 0, v[16:17]
	v_mul_lo_u32 v11, s17, v12
	v_mul_lo_u32 v16, s16, v13
	v_mad_u64_u32 v[14:15], s[2:3], s16, v12, 0
	v_add3_u32 v11, v15, v16, v11
	v_sub_u32_e32 v15, v7, v11
	v_mov_b32_e32 v16, s17
	v_sub_co_u32_e32 v9, vcc, v9, v14
	s_nop 1
	v_subb_co_u32_e64 v14, s[2:3], v15, v16, vcc
	v_subrev_co_u32_e64 v15, s[2:3], s16, v9
	v_subb_co_u32_e32 v7, vcc, v7, v11, vcc
	s_nop 0
	v_subbrev_co_u32_e64 v14, s[2:3], 0, v14, s[2:3]
	v_cmp_le_u32_e64 s[2:3], s17, v14
	v_cmp_le_u32_e32 vcc, s17, v7
	s_nop 0
	v_cndmask_b32_e64 v16, 0, -1, s[2:3]
	v_cmp_le_u32_e64 s[2:3], s16, v15
	v_cndmask_b32_e64 v11, 0, -1, vcc
	v_cmp_le_u32_e32 vcc, s16, v9
	v_cndmask_b32_e64 v15, 0, -1, s[2:3]
	v_cmp_eq_u32_e64 s[2:3], s17, v14
	v_cndmask_b32_e64 v9, 0, -1, vcc
	v_cmp_eq_u32_e32 vcc, s17, v7
	v_cndmask_b32_e64 v18, v16, v15, s[2:3]
	v_lshl_add_u64 v[14:15], v[12:13], 0, 2
	v_lshl_add_u64 v[16:17], v[12:13], 0, 1
	v_cmp_ne_u32_e64 s[2:3], 0, v18
	v_cndmask_b32_e32 v7, v11, v9, vcc
	v_cmp_ne_u32_e32 vcc, 0, v7
	v_cndmask_b32_e64 v9, v16, v14, s[2:3]
	v_cndmask_b32_e64 v15, v17, v15, s[2:3]
	v_cndmask_b32_e32 v9, v12, v9, vcc
	v_xor_b32_e32 v11, s14, v10
	v_cndmask_b32_e32 v7, v13, v15, vcc
	v_xor_b32_e32 v9, v9, v11
	v_xor_b32_e32 v7, v7, v11
	v_sub_co_u32_e32 v10, vcc, v9, v11
	s_nop 1
	v_subb_co_u32_e32 v11, vcc, v7, v11, vcc
.LBB37_8:
	s_or_saveexec_b64 s[2:3], s[4:5]
	s_load_dword s4, s[6:7], 0x0
	s_xor_b64 exec, exec, s[2:3]
	s_cbranch_execz .LBB37_10
; %bb.9:
	v_cvt_f32_u32_e32 v7, s10
	s_sub_i32 s5, 0, s10
	v_rcp_iflag_f32_e32 v7, v7
	s_nop 0
	v_mul_f32_e32 v7, 0x4f7ffffe, v7
	v_cvt_u32_f32_e32 v7, v7
	v_mul_lo_u32 v9, s5, v7
	v_mul_hi_u32 v9, v7, v9
	v_add_u32_e32 v7, v7, v9
	v_mul_hi_u32 v7, v4, v7
	v_mul_lo_u32 v9, v7, s10
	v_sub_u32_e32 v9, v4, v9
	v_add_u32_e32 v10, 1, v7
	v_subrev_u32_e32 v11, s10, v9
	v_cmp_le_u32_e32 vcc, s10, v9
	s_nop 1
	v_cndmask_b32_e32 v9, v9, v11, vcc
	v_cndmask_b32_e32 v7, v7, v10, vcc
	v_add_u32_e32 v10, 1, v7
	v_cmp_le_u32_e32 vcc, s10, v9
	v_mov_b32_e32 v11, 0
	s_nop 0
	v_cndmask_b32_e32 v10, v7, v10, vcc
.LBB37_10:
	s_or_b64 exec, exec, s[2:3]
	s_load_dwordx2 s[2:3], s[0:1], 0x20
	s_load_dword s5, s[0:1], 0x28
	v_lshlrev_b64 v[2:3], 2, v[2:3]
	s_load_dwordx8 s[24:31], s[0:1], 0x0
	v_mul_lo_u32 v23, v11, s10
	s_waitcnt lgkmcnt(0)
	v_lshl_add_u64 v[12:13], s[2:3], 0, v[2:3]
	global_load_dword v24, v[12:13], off
	v_mul_lo_u32 v25, v10, s11
	v_mad_u64_u32 v[14:15], s[0:1], v10, s10, 0
	v_ashrrev_i32_e32 v13, 31, v6
                                        ; implicit-def: $vgpr27
	v_add3_u32 v15, v15, v25, v23
	v_sub_co_u32_e32 v14, vcc, v4, v14
	v_mul_lo_u32 v20, v6, s19
	v_mad_u64_u32 v[16:17], s[0:1], v6, s18, 0
	v_mul_lo_u32 v21, v11, s12
	v_mul_lo_u32 v22, v10, s13
	v_mad_u64_u32 v[18:19], s[0:1], v10, s12, 0
	v_mul_lo_u32 v26, v6, s21
	v_mad_u64_u32 v[6:7], s[0:1], v6, s20, 0
	v_mul_lo_u32 v27, v13, s18
	v_mul_lo_u32 v13, v13, s20
	v_subb_co_u32_e32 v15, vcc, v5, v15, vcc
	v_mad_u64_u32 v[4:5], s[0:1], v14, s8, v[10:11]
	v_add3_u32 v19, v19, v22, v21
	v_add3_u32 v17, v17, v20, v27
	;; [unrolled: 1-line block ×3, first 2 shown]
	v_mul_lo_u32 v13, v14, s13
	v_mad_u64_u32 v[10:11], s[0:1], v14, s12, 0
	v_mul_lo_u32 v25, v4, s13
	v_mad_u64_u32 v[20:21], s[0:1], v4, s12, 0
	v_mul_lo_u32 v4, v15, s12
	v_add3_u32 v11, v11, v13, v4
	v_add_f32_e64 v13, s5, -1.0
	v_mul_lo_u32 v22, v14, s9
	v_mul_lo_u32 v14, v15, s8
	v_add3_u32 v14, v14, v5, v22
	v_mul_lo_u32 v15, v14, s12
	s_mov_b32 s16, 0x3f2aaaab
	v_add3_u32 v21, v21, v25, v15
	v_mov_b32_e32 v4, s28
	v_mov_b32_e32 v5, s29
	v_lshl_add_u64 v[2:3], s[26:27], 0, v[2:3]
	global_load_dword v14, v[2:3], off
	v_lshl_add_u64 v[2:3], v[16:17], 2, v[4:5]
	v_mov_b32_e32 v22, s30
	v_mov_b32_e32 v23, s31
	v_lshl_add_u64 v[6:7], v[6:7], 2, v[22:23]
	v_mul_lo_u32 v9, s12, v8
	v_mov_b32_e32 v8, 0
	v_ashrrev_i64 v[8:9], 30, v[8:9]
	v_lshl_add_u64 v[2:3], v[18:19], 2, v[2:3]
	v_lshl_add_u64 v[8:9], s[24:25], 0, v[8:9]
	;; [unrolled: 1-line block ×3, first 2 shown]
	v_mov_b32_e32 v12, 0x3e91f4c4
	s_mov_b32 s17, 0x3f317218
	s_movk_i32 s18, 0x204
	s_mov_b32 s20, 0x42b17218
	s_mov_b32 s21, 0x3fb8aa3b
	;; [unrolled: 1-line block ×4, first 2 shown]
	s_brev_b32 s7, -2
	s_mul_i32 s6, s4, s33
	v_cmp_lt_f32_e64 s[8:9], s5, 1.0
	v_lshlrev_b64 v[0:1], 2, v[0:1]
	v_lshl_add_u64 v[6:7], v[10:11], 2, v[6:7]
	v_lshl_add_u64 v[8:9], s[12:13], 2, v[2:3]
	;; [unrolled: 1-line block ×3, first 2 shown]
	s_mov_b64 s[12:13], 0
	s_waitcnt vmcnt(1)
	v_cmp_neq_f32_e32 vcc, 1.0, v24
	s_nop 1
	v_cndmask_b32_e32 v30, 1.0, v13, vcc
	v_cmp_neq_f32_e32 vcc, 0, v30
	v_cmp_eq_f32_e64 s[0:1], 0, v24
	v_cmp_neq_f32_e64 s[4:5], v30, |v30|
	v_cndmask_b32_e32 v31, 1.0, v24, vcc
	v_frexp_mant_f32_e64 v15, |v31|
	v_cmp_gt_f32_e32 vcc, s16, v15
	v_cmp_lt_f32_e64 s[10:11], |v31|, 1.0
	s_xor_b64 s[4:5], s[4:5], s[10:11]
	v_cndmask_b32_e64 v16, 1.0, 2.0, vcc
	v_mul_f32_e32 v15, v15, v16
	v_add_f32_e32 v16, 1.0, v15
	v_rcp_f32_e32 v22, v16
	v_add_f32_e32 v17, -1.0, v15
	v_add_f32_e32 v18, -1.0, v16
	v_sub_f32_e32 v15, v15, v18
	v_mul_f32_e32 v23, v17, v22
	v_mul_f32_e32 v18, v16, v23
	v_fma_f32 v20, v23, v16, -v18
	v_fmac_f32_e32 v20, v23, v15
	v_add_f32_e32 v16, v18, v20
	v_sub_f32_e32 v19, v17, v16
	v_mov_b32_e32 v21, v16
	v_pk_add_f32 v[16:17], v[16:17], v[18:19] neg_lo:[0,1] neg_hi:[0,1]
	s_nop 0
	v_pk_add_f32 v[16:17], v[16:17], v[20:21] neg_lo:[0,1] neg_hi:[0,1]
	s_nop 0
	v_add_f32_e32 v15, v16, v17
	v_add_f32_e32 v15, v19, v15
	v_mul_f32_e32 v15, v22, v15
	v_add_f32_e32 v16, v23, v15
	v_sub_f32_e32 v17, v16, v23
	v_mul_f32_e32 v19, v16, v16
	v_sub_f32_e32 v15, v15, v17
	v_fma_f32 v17, v16, v16, -v19
	v_add_f32_e32 v18, v15, v15
	v_fmac_f32_e32 v17, v16, v18
	v_add_f32_e32 v18, v19, v17
	v_fmamk_f32 v20, v18, 0x3e76c4e1, v12
	v_sub_f32_e32 v19, v18, v19
	v_fmaak_f32 v20, v18, v20, 0x3ecccdef
	v_sub_f32_e32 v26, v17, v19
	v_mul_f32_e32 v17, v18, v20
	v_fma_f32 v19, v18, v20, -v17
	v_fmac_f32_e32 v19, v26, v20
	v_add_f32_e32 v20, v17, v19
	v_add_f32_e32 v21, 0x3f2aaaaa, v20
	v_sub_f32_e32 v17, v20, v17
	v_sub_f32_e32 v17, v19, v17
	v_add_f32_e32 v19, 0xbf2aaaaa, v21
	v_add_f32_e32 v17, 0x31739010, v17
	v_sub_f32_e32 v19, v20, v19
	v_pk_mul_f32 v[22:23], v[16:17], v[18:19]
	v_pk_add_f32 v[24:25], v[16:17], v[18:19]
	v_fma_f32 v20, v18, v16, -v22
	v_fmac_f32_e32 v20, v18, v15
	v_mov_b32_e32 v23, v25
	v_fmac_f32_e32 v20, v26, v16
	v_pk_add_f32 v[18:19], v[22:23], v[20:21]
	v_ldexp_f32 v15, v15, 1
	v_sub_f32_e32 v21, v21, v19
	v_sub_f32_e32 v17, v18, v22
	v_pk_mul_f32 v[22:23], v[18:19], v[18:19] op_sel:[0,1] op_sel_hi:[1,0]
	v_add_f32_e32 v21, v25, v21
	v_cvt_f64_f32_e64 v[24:25], |v31|
	v_frexp_exp_i32_f64_e32 v23, v[24:25]
	v_subbrev_co_u32_e32 v23, vcc, 0, v23, vcc
	v_cvt_f32_i32_e32 v23, v23
	v_sub_f32_e32 v17, v20, v17
	v_fma_f32 v20, v18, v19, -v22
	v_fmac_f32_e32 v20, v18, v21
	v_mul_f32_e32 v18, 0x3f317218, v23
	v_fmac_f32_e32 v20, v17, v19
	v_fma_f32 v24, v23, s17, -v18
	v_fmac_f32_e32 v24, 0xb102e308, v23
	v_ldexp_f32 v25, v16, 1
	v_add_f32_e32 v19, v22, v20
	v_pk_add_f32 v[16:17], v[18:19], v[24:25]
	v_mov_b32_e32 v26, v19
	v_mov_b32_e32 v27, v17
	;; [unrolled: 1-line block ×3, first 2 shown]
	v_pk_add_f32 v[22:23], v[26:27], v[22:23] neg_lo:[0,1] neg_hi:[0,1]
	v_mov_b32_e32 v21, v19
	v_pk_add_f32 v[20:21], v[20:21], v[22:23] neg_lo:[0,1] neg_hi:[0,1]
	v_mov_b32_e32 v25, v16
	v_add_f32_e32 v15, v15, v20
	v_add_f32_e32 v19, v15, v21
	v_pk_add_f32 v[20:21], v[16:17], v[18:19] neg_lo:[0,1] neg_hi:[0,1]
	v_pk_add_f32 v[22:23], v[16:17], v[18:19]
	v_mov_b32_e32 v18, v19
	v_mov_b32_e32 v21, v23
	v_pk_add_f32 v[26:27], v[24:25], v[20:21] neg_lo:[0,1] neg_hi:[0,1]
	v_pk_add_f32 v[20:21], v[24:25], v[20:21]
	v_mov_b32_e32 v19, v16
	v_pk_add_f32 v[24:25], v[20:21], v[16:17] op_sel:[1,0] op_sel_hi:[0,1] neg_lo:[0,1] neg_hi:[0,1]
	v_pk_add_f32 v[28:29], v[22:23], v[24:25] op_sel_hi:[1,0] neg_lo:[0,1] neg_hi:[0,1]
	v_mov_b32_e32 v22, v23
	v_mov_b32_e32 v23, v21
	v_pk_mov_b32 v[24:25], v[16:17], v[24:25] op_sel:[1,0]
	v_mov_b32_e32 v28, v26
	v_pk_add_f32 v[22:23], v[22:23], v[24:25] neg_lo:[0,1] neg_hi:[0,1]
	v_mov_b32_e32 v27, v21
	v_pk_add_f32 v[16:17], v[18:19], v[22:23] neg_lo:[0,1] neg_hi:[0,1]
	s_nop 0
	v_pk_add_f32 v[18:19], v[28:29], v[16:17]
	s_nop 0
	v_pk_add_f32 v[22:23], v[18:19], v[18:19] op_sel:[0,1] op_sel_hi:[1,0]
	s_nop 0
	v_pk_add_f32 v[20:21], v[20:21], v[22:23] op_sel:[1,0] op_sel_hi:[0,1]
	v_mov_b32_e32 v19, v20
	v_pk_add_f32 v[24:25], v[18:19], v[26:27] neg_lo:[0,1] neg_hi:[0,1]
	v_mov_b32_e32 v17, v22
	v_sub_f32_e32 v15, v18, v24
	v_pk_add_f32 v[16:17], v[16:17], v[24:25] neg_lo:[0,1] neg_hi:[0,1]
	v_sub_f32_e32 v15, v26, v15
	v_add_f32_e32 v15, v16, v15
	v_add_f32_e32 v15, v15, v17
	;; [unrolled: 1-line block ×3, first 2 shown]
	v_sub_f32_e32 v17, v16, v20
	v_sub_f32_e32 v15, v15, v17
	v_mul_f32_e32 v17, v30, v16
	v_fma_f32 v16, v30, v16, -v17
	v_fmac_f32_e32 v16, v30, v15
	v_add_f32_e32 v15, v17, v16
	v_cmp_class_f32_e64 vcc, v17, s18
	v_sub_f32_e32 v18, v15, v17
	v_sub_f32_e32 v16, v16, v18
	v_cndmask_b32_e32 v17, v15, v17, vcc
	v_mov_b32_e32 v15, 0x37000000
	v_cmp_eq_f32_e32 vcc, s20, v17
	s_nop 1
	v_cndmask_b32_e32 v18, 0, v15, vcc
	v_sub_f32_e32 v19, v17, v18
	v_mul_f32_e32 v20, 0x3fb8aa3b, v19
	v_fma_f32 v21, v19, s21, -v20
	v_rndne_f32_e32 v22, v20
	v_fmac_f32_e32 v21, 0x32a5705f, v19
	v_sub_f32_e32 v20, v20, v22
	v_add_f32_e32 v20, v20, v21
	v_exp_f32_e32 v20, v20
	v_cvt_i32_f32_e32 v21, v22
	v_cmp_neq_f32_e64 vcc, |v17|, s19
	s_nop 1
	v_cndmask_b32_e32 v16, 0, v16, vcc
	v_add_f32_e32 v17, v18, v16
	v_ldexp_f32 v16, v20, v21
	v_cmp_ngt_f32_e32 vcc, s22, v19
	s_nop 1
	v_cndmask_b32_e32 v18, 0, v16, vcc
	v_mov_b32_e32 v16, 0x7f800000
	v_cmp_nlt_f32_e32 vcc, s20, v19
	v_trunc_f32_e32 v19, v30
	s_nop 0
	v_cndmask_b32_e32 v18, v16, v18, vcc
	v_fma_f32 v17, v18, v17, v18
	v_cmp_class_f32_e64 vcc, v18, s18
	s_nop 1
	v_cndmask_b32_e32 v18, v17, v18, vcc
	v_cmp_eq_f32_e32 vcc, v19, v30
	v_mul_f32_e32 v19, 0.5, v30
	v_trunc_f32_e32 v20, v19
	v_cmp_neq_f32_e64 s[2:3], v20, v19
	s_and_b64 s[2:3], vcc, s[2:3]
	v_mov_b32_e32 v17, 0x7fc00000
	v_cndmask_b32_e64 v19, 1.0, v31, s[2:3]
	v_bfi_b32 v18, s7, v18, v19
	v_cndmask_b32_e32 v19, v17, v18, vcc
	v_cmp_gt_f32_e32 vcc, 0, v31
	v_cndmask_b32_e64 v20, 0, v31, s[2:3]
	s_nop 0
	v_cndmask_b32_e32 v18, v18, v19, vcc
	v_cndmask_b32_e64 v19, v16, 0, s[4:5]
	v_cmp_neq_f32_e64 vcc, |v31|, 1.0
	s_nop 1
	v_cndmask_b32_e32 v19, 1.0, v19, vcc
	v_cmp_class_f32_e64 vcc, v30, s18
	s_nop 1
	v_cndmask_b32_e32 v18, v18, v19, vcc
	v_cmp_gt_f32_e32 vcc, 0, v30
	s_nop 1
	v_cndmask_b32_e64 v19, v16, 0, vcc
	v_bfi_b32 v19, s7, v19, v20
	v_cmp_class_f32_e64 vcc, v31, s18
	s_ashr_i32 s7, s6, 31
	s_lshl_b64 s[10:11], s[6:7], 2
	v_cndmask_b32_e32 v18, v18, v19, vcc
	v_cmp_o_f32_e32 vcc, v31, v30
	s_nop 1
	v_cndmask_b32_e32 v18, v17, v18, vcc
	s_branch .LBB37_12
.LBB37_11:                              ;   in Loop: Header=BB37_12 Depth=1
	s_or_b64 exec, exec, s[14:15]
	v_lshl_add_u64 v[10:11], s[6:7], 2, v[10:11]
	v_cmp_ge_u64_e32 vcc, v[10:11], v[8:9]
	v_lshl_add_u64 v[22:23], v[4:5], 0, v[0:1]
	s_or_b64 s[12:13], vcc, s[12:13]
	v_lshl_add_u64 v[0:1], v[0:1], 0, s[10:11]
	global_store_dword v[22:23], v20, off
	s_andn2_b64 exec, exec, s[12:13]
	s_cbranch_execz .LBB37_14
.LBB37_12:                              ; =>This Inner Loop Header: Depth=1
	v_lshl_add_u64 v[22:23], v[2:3], 0, v[0:1]
	v_lshl_add_u64 v[20:21], v[6:7], 0, v[0:1]
	global_load_dword v19, v[22:23], off
	global_load_dword v24, v[20:21], off
	v_mov_b32_e32 v20, 0
	s_waitcnt vmcnt(0)
	v_sub_f32_e32 v19, v19, v24
	v_cmp_eq_f32_e32 vcc, 0, v19
	s_and_b64 s[2:3], s[8:9], vcc
	s_nor_b64 s[2:3], s[0:1], s[2:3]
	s_and_saveexec_b64 s[14:15], s[2:3]
	s_cbranch_execz .LBB37_11
; %bb.13:                               ;   in Loop: Header=BB37_12 Depth=1
	v_cmp_lt_f32_e32 vcc, 0, v19
	s_nop 1
	v_cndmask_b32_e64 v20, 0, 1, vcc
	v_cmp_gt_f32_e32 vcc, 0, v19
	s_nop 1
	v_subbrev_co_u32_e32 v20, vcc, 0, v20, vcc
	v_cmp_neq_f32_e64 vcc, |v19|, 1.0
	v_cvt_f32_i32_e32 v34, v20
	s_nop 0
	v_cndmask_b32_e32 v35, 1.0, v13, vcc
	v_cmp_neq_f32_e32 vcc, 0, v35
	v_cmp_neq_f32_e64 s[2:3], v35, |v35|
	v_cmp_gt_f32_e64 s[4:5], 0, v35
	v_cndmask_b32_e64 v19, 1.0, |v19|, vcc
	v_frexp_mant_f32_e32 v20, v19
	v_cmp_gt_f32_e32 vcc, s16, v20
	s_nop 1
	v_cndmask_b32_e64 v21, 1.0, 2.0, vcc
	v_mul_f32_e32 v20, v20, v21
	v_add_f32_e32 v23, 1.0, v20
	v_rcp_f32_e32 v28, v23
	v_add_f32_e32 v21, -1.0, v23
	v_sub_f32_e32 v25, v20, v21
	v_add_f32_e32 v21, -1.0, v20
	v_mul_f32_e32 v29, v21, v28
	v_mul_f32_e32 v22, v23, v29
	v_fma_f32 v24, v29, v23, -v22
	v_fmac_f32_e32 v24, v29, v25
	v_add_f32_e32 v20, v22, v24
	v_sub_f32_e32 v23, v21, v20
	v_pk_add_f32 v[26:27], v[20:21], v[22:23] neg_lo:[0,1] neg_hi:[0,1]
	v_mov_b32_e32 v25, v20
	v_pk_add_f32 v[20:21], v[26:27], v[24:25] neg_lo:[0,1] neg_hi:[0,1]
	s_nop 0
	v_add_f32_e32 v20, v20, v21
	v_add_f32_e32 v20, v23, v20
	v_mul_f32_e32 v21, v28, v20
	v_add_f32_e32 v20, v29, v21
	v_sub_f32_e32 v22, v20, v29
	v_sub_f32_e32 v30, v21, v22
	v_mul_f32_e32 v21, v20, v20
	v_fma_f32 v23, v20, v20, -v21
	v_add_f32_e32 v22, v30, v30
	v_fmac_f32_e32 v23, v20, v22
	v_add_f32_e32 v22, v21, v23
	v_fmamk_f32 v24, v22, 0x3e76c4e1, v12
	v_fmaak_f32 v24, v22, v24, 0x3ecccdef
	v_sub_f32_e32 v21, v22, v21
	v_sub_f32_e32 v31, v23, v21
	v_mul_f32_e32 v21, v22, v24
	v_fma_f32 v23, v22, v24, -v21
	v_fmac_f32_e32 v23, v31, v24
	v_add_f32_e32 v24, v21, v23
	v_add_f32_e32 v25, 0x3f2aaaaa, v24
	v_sub_f32_e32 v21, v24, v21
	v_sub_f32_e32 v21, v23, v21
	v_add_f32_e32 v23, 0xbf2aaaaa, v25
	v_add_f32_e32 v21, 0x31739010, v21
	v_sub_f32_e32 v23, v24, v23
	v_pk_mul_f32 v[26:27], v[20:21], v[22:23]
	v_pk_add_f32 v[28:29], v[20:21], v[22:23]
	v_fma_f32 v24, v22, v20, -v26
	v_fmac_f32_e32 v24, v22, v30
	v_mov_b32_e32 v27, v29
	v_fmac_f32_e32 v24, v31, v20
	v_pk_add_f32 v[22:23], v[26:27], v[24:25]
	v_ldexp_f32 v32, v30, 1
	v_sub_f32_e32 v21, v22, v26
	v_sub_f32_e32 v21, v24, v21
	;; [unrolled: 1-line block ×3, first 2 shown]
	v_add_f32_e32 v28, v29, v24
	v_pk_mul_f32 v[24:25], v[22:23], v[22:23] op_sel:[0,1] op_sel_hi:[1,0]
	v_cvt_f64_f32_e32 v[26:27], v19
	v_frexp_exp_i32_f64_e32 v25, v[26:27]
	v_subbrev_co_u32_e32 v25, vcc, 0, v25, vcc
	v_cvt_f32_i32_e32 v25, v25
	v_fma_f32 v26, v22, v23, -v24
	v_fmac_f32_e32 v26, v22, v28
	v_fmac_f32_e32 v26, v21, v23
	v_mul_f32_e32 v22, 0x3f317218, v25
	v_fma_f32 v28, v25, s17, -v22
	v_fmac_f32_e32 v28, 0xb102e308, v25
	v_ldexp_f32 v29, v20, 1
	v_add_f32_e32 v23, v24, v26
	v_pk_add_f32 v[20:21], v[22:23], v[28:29]
	v_mov_b32_e32 v30, v23
	v_mov_b32_e32 v31, v21
	;; [unrolled: 1-line block ×3, first 2 shown]
	v_pk_add_f32 v[24:25], v[30:31], v[24:25] neg_lo:[0,1] neg_hi:[0,1]
	v_mov_b32_e32 v27, v23
	v_pk_add_f32 v[24:25], v[26:27], v[24:25] neg_lo:[0,1] neg_hi:[0,1]
	v_mov_b32_e32 v29, v20
	v_add_f32_e32 v23, v32, v24
	v_add_f32_e32 v23, v23, v25
	v_pk_add_f32 v[24:25], v[20:21], v[22:23] neg_lo:[0,1] neg_hi:[0,1]
	v_pk_add_f32 v[26:27], v[20:21], v[22:23]
	v_mov_b32_e32 v22, v23
	v_mov_b32_e32 v25, v27
	v_pk_add_f32 v[30:31], v[28:29], v[24:25] neg_lo:[0,1] neg_hi:[0,1]
	v_pk_add_f32 v[24:25], v[28:29], v[24:25]
	v_mov_b32_e32 v23, v20
	v_pk_add_f32 v[28:29], v[24:25], v[20:21] op_sel:[1,0] op_sel_hi:[0,1] neg_lo:[0,1] neg_hi:[0,1]
	v_pk_add_f32 v[32:33], v[26:27], v[28:29] op_sel_hi:[1,0] neg_lo:[0,1] neg_hi:[0,1]
	v_mov_b32_e32 v26, v27
	v_mov_b32_e32 v27, v25
	v_pk_mov_b32 v[28:29], v[20:21], v[28:29] op_sel:[1,0]
	v_mov_b32_e32 v32, v30
	v_pk_add_f32 v[26:27], v[26:27], v[28:29] neg_lo:[0,1] neg_hi:[0,1]
	v_mov_b32_e32 v31, v25
	v_pk_add_f32 v[20:21], v[22:23], v[26:27] neg_lo:[0,1] neg_hi:[0,1]
	s_nop 0
	v_pk_add_f32 v[22:23], v[32:33], v[20:21]
	s_nop 0
	v_pk_add_f32 v[26:27], v[22:23], v[22:23] op_sel:[0,1] op_sel_hi:[1,0]
	s_nop 0
	v_pk_add_f32 v[24:25], v[24:25], v[26:27] op_sel:[1,0] op_sel_hi:[0,1]
	v_mov_b32_e32 v23, v24
	v_pk_add_f32 v[28:29], v[22:23], v[30:31] neg_lo:[0,1] neg_hi:[0,1]
	v_mov_b32_e32 v21, v26
	v_sub_f32_e32 v22, v22, v28
	v_pk_add_f32 v[20:21], v[20:21], v[28:29] neg_lo:[0,1] neg_hi:[0,1]
	v_sub_f32_e32 v22, v30, v22
	v_add_f32_e32 v20, v20, v22
	v_add_f32_e32 v20, v20, v21
	;; [unrolled: 1-line block ×3, first 2 shown]
	v_sub_f32_e32 v22, v21, v24
	v_sub_f32_e32 v20, v20, v22
	v_mul_f32_e32 v22, v35, v21
	v_fma_f32 v21, v35, v21, -v22
	v_fmac_f32_e32 v21, v35, v20
	v_add_f32_e32 v20, v22, v21
	v_cmp_class_f32_e64 vcc, v22, s18
	v_sub_f32_e32 v23, v20, v22
	v_sub_f32_e32 v21, v21, v23
	v_cndmask_b32_e32 v20, v20, v22, vcc
	v_cmp_eq_f32_e32 vcc, s20, v20
	s_nop 1
	v_cndmask_b32_e32 v22, 0, v15, vcc
	v_sub_f32_e32 v23, v20, v22
	v_mul_f32_e32 v24, 0x3fb8aa3b, v23
	v_fma_f32 v25, v23, s21, -v24
	v_rndne_f32_e32 v26, v24
	v_fmac_f32_e32 v25, 0x32a5705f, v23
	v_sub_f32_e32 v24, v24, v26
	v_add_f32_e32 v24, v24, v25
	v_exp_f32_e32 v24, v24
	v_cvt_i32_f32_e32 v25, v26
	v_cmp_neq_f32_e64 vcc, |v20|, s19
	s_nop 1
	v_cndmask_b32_e32 v20, 0, v21, vcc
	v_ldexp_f32 v21, v24, v25
	v_cmp_ngt_f32_e32 vcc, s22, v23
	v_add_f32_e32 v20, v22, v20
	s_nop 0
	v_cndmask_b32_e32 v21, 0, v21, vcc
	v_cmp_nlt_f32_e32 vcc, s20, v23
	s_nop 1
	v_cndmask_b32_e32 v21, v16, v21, vcc
	v_fma_f32 v20, v21, v20, v21
	v_cmp_class_f32_e64 vcc, v21, s18
	s_nop 1
	v_cndmask_b32_e32 v20, v20, v21, vcc
	v_cmp_gt_f32_e32 vcc, 1.0, v19
	s_xor_b64 s[2:3], s[2:3], vcc
	v_cndmask_b32_e64 v21, v16, 0, s[2:3]
	v_cmp_neq_f32_e32 vcc, 1.0, v19
	v_cmp_class_f32_e64 s[2:3], v35, s18
	s_nop 0
	v_cndmask_b32_e32 v21, 1.0, v21, vcc
	v_cndmask_b32_e64 v20, |v20|, v21, s[2:3]
	v_cmp_eq_f32_e64 s[2:3], 0, v19
	v_cmp_eq_f32_e32 vcc, s19, v19
	s_xor_b64 s[4:5], s[4:5], s[2:3]
	v_cndmask_b32_e64 v21, v16, 0, s[4:5]
	s_or_b64 vcc, s[2:3], vcc
	v_cndmask_b32_e32 v20, v20, v21, vcc
	v_cmp_o_f32_e32 vcc, v19, v35
	s_nop 1
	v_cndmask_b32_e32 v19, v17, v20, vcc
	v_mul_f32_e32 v19, v19, v34
	v_mul_f32_e32 v19, v14, v19
	v_div_scale_f32 v20, s[2:3], v18, v18, v19
	v_rcp_f32_e32 v21, v20
	s_nop 0
	v_fma_f32 v22, -v20, v21, 1.0
	v_fmac_f32_e32 v21, v22, v21
	v_div_scale_f32 v22, vcc, v19, v18, v19
	v_mul_f32_e32 v23, v22, v21
	v_fma_f32 v24, -v20, v23, v22
	v_fmac_f32_e32 v23, v24, v21
	v_fma_f32 v20, -v20, v23, v22
	v_div_fmas_f32 v20, v20, v21, v23
	v_div_fixup_f32 v20, v20, v18, v19
	s_branch .LBB37_11
.LBB37_14:
	s_endpgm
	.section	.rodata,"a",@progbits
	.p2align	6, 0x0
	.amdhsa_kernel _ZN2at6native12_GLOBAL__N_131cdist_backward_kernel_cuda_implIfNS1_5distsIfE6lt_twoEEEvPT_PKS6_S9_S9_S9_S6_lllllll
		.amdhsa_group_segment_fixed_size 0
		.amdhsa_private_segment_fixed_size 0
		.amdhsa_kernarg_size 360
		.amdhsa_user_sgpr_count 2
		.amdhsa_user_sgpr_dispatch_ptr 0
		.amdhsa_user_sgpr_queue_ptr 0
		.amdhsa_user_sgpr_kernarg_segment_ptr 1
		.amdhsa_user_sgpr_dispatch_id 0
		.amdhsa_user_sgpr_kernarg_preload_length 0
		.amdhsa_user_sgpr_kernarg_preload_offset 0
		.amdhsa_user_sgpr_private_segment_size 0
		.amdhsa_uses_dynamic_stack 0
		.amdhsa_enable_private_segment 0
		.amdhsa_system_sgpr_workgroup_id_x 1
		.amdhsa_system_sgpr_workgroup_id_y 1
		.amdhsa_system_sgpr_workgroup_id_z 1
		.amdhsa_system_sgpr_workgroup_info 0
		.amdhsa_system_vgpr_workitem_id 1
		.amdhsa_next_free_vgpr 36
		.amdhsa_next_free_sgpr 34
		.amdhsa_accum_offset 36
		.amdhsa_reserve_vcc 1
		.amdhsa_float_round_mode_32 0
		.amdhsa_float_round_mode_16_64 0
		.amdhsa_float_denorm_mode_32 3
		.amdhsa_float_denorm_mode_16_64 3
		.amdhsa_dx10_clamp 1
		.amdhsa_ieee_mode 1
		.amdhsa_fp16_overflow 0
		.amdhsa_tg_split 0
		.amdhsa_exception_fp_ieee_invalid_op 0
		.amdhsa_exception_fp_denorm_src 0
		.amdhsa_exception_fp_ieee_div_zero 0
		.amdhsa_exception_fp_ieee_overflow 0
		.amdhsa_exception_fp_ieee_underflow 0
		.amdhsa_exception_fp_ieee_inexact 0
		.amdhsa_exception_int_div_zero 0
	.end_amdhsa_kernel
	.section	.text._ZN2at6native12_GLOBAL__N_131cdist_backward_kernel_cuda_implIfNS1_5distsIfE6lt_twoEEEvPT_PKS6_S9_S9_S9_S6_lllllll,"axG",@progbits,_ZN2at6native12_GLOBAL__N_131cdist_backward_kernel_cuda_implIfNS1_5distsIfE6lt_twoEEEvPT_PKS6_S9_S9_S9_S6_lllllll,comdat
.Lfunc_end37:
	.size	_ZN2at6native12_GLOBAL__N_131cdist_backward_kernel_cuda_implIfNS1_5distsIfE6lt_twoEEEvPT_PKS6_S9_S9_S9_S6_lllllll, .Lfunc_end37-_ZN2at6native12_GLOBAL__N_131cdist_backward_kernel_cuda_implIfNS1_5distsIfE6lt_twoEEEvPT_PKS6_S9_S9_S9_S6_lllllll
                                        ; -- End function
	.set _ZN2at6native12_GLOBAL__N_131cdist_backward_kernel_cuda_implIfNS1_5distsIfE6lt_twoEEEvPT_PKS6_S9_S9_S9_S6_lllllll.num_vgpr, 36
	.set _ZN2at6native12_GLOBAL__N_131cdist_backward_kernel_cuda_implIfNS1_5distsIfE6lt_twoEEEvPT_PKS6_S9_S9_S9_S6_lllllll.num_agpr, 0
	.set _ZN2at6native12_GLOBAL__N_131cdist_backward_kernel_cuda_implIfNS1_5distsIfE6lt_twoEEEvPT_PKS6_S9_S9_S9_S6_lllllll.numbered_sgpr, 34
	.set _ZN2at6native12_GLOBAL__N_131cdist_backward_kernel_cuda_implIfNS1_5distsIfE6lt_twoEEEvPT_PKS6_S9_S9_S9_S6_lllllll.num_named_barrier, 0
	.set _ZN2at6native12_GLOBAL__N_131cdist_backward_kernel_cuda_implIfNS1_5distsIfE6lt_twoEEEvPT_PKS6_S9_S9_S9_S6_lllllll.private_seg_size, 0
	.set _ZN2at6native12_GLOBAL__N_131cdist_backward_kernel_cuda_implIfNS1_5distsIfE6lt_twoEEEvPT_PKS6_S9_S9_S9_S6_lllllll.uses_vcc, 1
	.set _ZN2at6native12_GLOBAL__N_131cdist_backward_kernel_cuda_implIfNS1_5distsIfE6lt_twoEEEvPT_PKS6_S9_S9_S9_S6_lllllll.uses_flat_scratch, 0
	.set _ZN2at6native12_GLOBAL__N_131cdist_backward_kernel_cuda_implIfNS1_5distsIfE6lt_twoEEEvPT_PKS6_S9_S9_S9_S6_lllllll.has_dyn_sized_stack, 0
	.set _ZN2at6native12_GLOBAL__N_131cdist_backward_kernel_cuda_implIfNS1_5distsIfE6lt_twoEEEvPT_PKS6_S9_S9_S9_S6_lllllll.has_recursion, 0
	.set _ZN2at6native12_GLOBAL__N_131cdist_backward_kernel_cuda_implIfNS1_5distsIfE6lt_twoEEEvPT_PKS6_S9_S9_S9_S6_lllllll.has_indirect_call, 0
	.section	.AMDGPU.csdata,"",@progbits
; Kernel info:
; codeLenInByte = 4448
; TotalNumSgprs: 40
; NumVgprs: 36
; NumAgprs: 0
; TotalNumVgprs: 36
; ScratchSize: 0
; MemoryBound: 0
; FloatMode: 240
; IeeeMode: 1
; LDSByteSize: 0 bytes/workgroup (compile time only)
; SGPRBlocks: 4
; VGPRBlocks: 4
; NumSGPRsForWavesPerEU: 40
; NumVGPRsForWavesPerEU: 36
; AccumOffset: 36
; Occupancy: 8
; WaveLimiterHint : 0
; COMPUTE_PGM_RSRC2:SCRATCH_EN: 0
; COMPUTE_PGM_RSRC2:USER_SGPR: 2
; COMPUTE_PGM_RSRC2:TRAP_HANDLER: 0
; COMPUTE_PGM_RSRC2:TGID_X_EN: 1
; COMPUTE_PGM_RSRC2:TGID_Y_EN: 1
; COMPUTE_PGM_RSRC2:TGID_Z_EN: 1
; COMPUTE_PGM_RSRC2:TIDIG_COMP_CNT: 1
; COMPUTE_PGM_RSRC3_GFX90A:ACCUM_OFFSET: 8
; COMPUTE_PGM_RSRC3_GFX90A:TG_SPLIT: 0
	.section	.text._ZN2at6native12_GLOBAL__N_131cdist_backward_kernel_cuda_implIfNS1_5distsIfE3twoEEEvPT_PKS6_S9_S9_S9_S6_lllllll,"axG",@progbits,_ZN2at6native12_GLOBAL__N_131cdist_backward_kernel_cuda_implIfNS1_5distsIfE3twoEEEvPT_PKS6_S9_S9_S9_S6_lllllll,comdat
	.globl	_ZN2at6native12_GLOBAL__N_131cdist_backward_kernel_cuda_implIfNS1_5distsIfE3twoEEEvPT_PKS6_S9_S9_S9_S6_lllllll ; -- Begin function _ZN2at6native12_GLOBAL__N_131cdist_backward_kernel_cuda_implIfNS1_5distsIfE3twoEEEvPT_PKS6_S9_S9_S9_S6_lllllll
	.p2align	8
	.type	_ZN2at6native12_GLOBAL__N_131cdist_backward_kernel_cuda_implIfNS1_5distsIfE3twoEEEvPT_PKS6_S9_S9_S9_S6_lllllll,@function
_ZN2at6native12_GLOBAL__N_131cdist_backward_kernel_cuda_implIfNS1_5distsIfE3twoEEEvPT_PKS6_S9_S9_S9_S6_lllllll: ; @_ZN2at6native12_GLOBAL__N_131cdist_backward_kernel_cuda_implIfNS1_5distsIfE3twoEEEvPT_PKS6_S9_S9_S9_S6_lllllll
; %bb.0:
	s_load_dwordx2 s[24:25], s[0:1], 0x70
	s_load_dwordx8 s[8:15], s[0:1], 0x30
	s_add_u32 s6, s0, 0x68
	s_addc_u32 s7, s1, 0
	v_bfe_u32 v1, v0, 10, 10
	s_waitcnt lgkmcnt(0)
	s_mul_i32 s3, s24, s3
	s_add_i32 s3, s3, s4
	s_lshr_b32 s4, s25, 16
	s_mul_i32 s3, s3, s4
	v_add_u32_e32 v2, s3, v1
	v_ashrrev_i32_e32 v3, 31, v2
	v_cmp_gt_i64_e32 vcc, s[14:15], v[2:3]
	s_and_saveexec_b64 s[4:5], vcc
	s_cbranch_execz .LBB38_14
; %bb.1:
	s_load_dwordx8 s[16:23], s[0:1], 0x50
	s_and_b32 s33, s25, 0xffff
	s_mul_i32 s2, s2, s33
	v_and_b32_e32 v0, 0x3ff, v0
	v_add_u32_e32 v0, s2, v0
	v_ashrrev_i32_e32 v1, 31, v0
	v_cmp_gt_i64_e32 vcc, s[12:13], v[0:1]
	s_and_b64 exec, exec, vcc
	s_cbranch_execz .LBB38_14
; %bb.2:
	s_waitcnt lgkmcnt(0)
	v_or_b32_e32 v7, s17, v3
	v_mov_b32_e32 v6, 0
	v_cmp_ne_u64_e32 vcc, 0, v[6:7]
                                        ; implicit-def: $vgpr4_vgpr5
	s_and_saveexec_b64 s[2:3], vcc
	s_xor_b64 s[4:5], exec, s[2:3]
	s_cbranch_execz .LBB38_4
; %bb.3:
	s_ashr_i32 s14, s17, 31
	s_add_u32 s2, s16, s14
	s_mov_b32 s15, s14
	s_addc_u32 s3, s17, s14
	s_xor_b64 s[22:23], s[2:3], s[14:15]
	v_cvt_f32_u32_e32 v4, s22
	v_cvt_f32_u32_e32 v5, s23
	s_sub_u32 s15, 0, s22
	s_subb_u32 s24, 0, s23
	v_mov_b32_e32 v11, v6
	v_fmamk_f32 v4, v5, 0x4f800000, v4
	v_rcp_f32_e32 v4, v4
	s_nop 0
	v_mul_f32_e32 v4, 0x5f7ffffc, v4
	v_mul_f32_e32 v5, 0x2f800000, v4
	v_trunc_f32_e32 v5, v5
	v_fmamk_f32 v4, v5, 0xcf800000, v4
	v_cvt_u32_f32_e32 v5, v5
	v_cvt_u32_f32_e32 v4, v4
	v_readfirstlane_b32 s25, v5
	v_readfirstlane_b32 s2, v4
	s_mul_i32 s3, s15, s25
	s_mul_hi_u32 s27, s15, s2
	s_mul_i32 s26, s24, s2
	s_add_i32 s3, s27, s3
	s_add_i32 s3, s3, s26
	s_mul_i32 s28, s15, s2
	s_mul_i32 s27, s2, s3
	s_mul_hi_u32 s29, s2, s28
	s_mul_hi_u32 s26, s2, s3
	s_add_u32 s27, s29, s27
	s_addc_u32 s26, 0, s26
	s_mul_hi_u32 s30, s25, s28
	s_mul_i32 s28, s25, s28
	s_add_u32 s27, s27, s28
	s_mul_hi_u32 s29, s25, s3
	s_addc_u32 s26, s26, s30
	s_addc_u32 s27, s29, 0
	s_mul_i32 s3, s25, s3
	s_add_u32 s3, s26, s3
	s_addc_u32 s26, 0, s27
	s_add_u32 s27, s2, s3
	s_cselect_b64 s[2:3], -1, 0
	s_cmp_lg_u64 s[2:3], 0
	s_addc_u32 s25, s25, s26
	s_mul_i32 s2, s15, s25
	s_mul_hi_u32 s3, s15, s27
	s_add_i32 s2, s3, s2
	s_mul_i32 s24, s24, s27
	s_add_i32 s2, s2, s24
	s_mul_i32 s15, s15, s27
	s_mul_hi_u32 s24, s25, s15
	s_mul_i32 s26, s25, s15
	s_mul_i32 s29, s27, s2
	s_mul_hi_u32 s15, s27, s15
	s_mul_hi_u32 s28, s27, s2
	s_add_u32 s15, s15, s29
	s_addc_u32 s28, 0, s28
	s_add_u32 s15, s15, s26
	s_mul_hi_u32 s3, s25, s2
	s_addc_u32 s15, s28, s24
	s_addc_u32 s3, s3, 0
	s_mul_i32 s2, s25, s2
	s_add_u32 s2, s15, s2
	s_addc_u32 s15, 0, s3
	s_add_u32 s24, s27, s2
	v_ashrrev_i32_e32 v4, 31, v3
	s_cselect_b64 s[2:3], -1, 0
	v_mov_b32_e32 v5, v4
	s_cmp_lg_u64 s[2:3], 0
	v_lshl_add_u64 v[8:9], v[2:3], 0, v[4:5]
	s_addc_u32 s15, s25, s15
	v_xor_b32_e32 v14, v8, v4
	v_xor_b32_e32 v5, v9, v4
	v_mad_u64_u32 v[8:9], s[2:3], v14, s15, 0
	v_mul_hi_u32 v10, v14, s24
	v_lshl_add_u64 v[8:9], v[10:11], 0, v[8:9]
	v_mad_u64_u32 v[12:13], s[2:3], v5, s24, 0
	v_add_co_u32_e32 v7, vcc, v8, v12
	v_mad_u64_u32 v[10:11], s[2:3], v5, s15, 0
	s_nop 0
	v_addc_co_u32_e32 v8, vcc, v9, v13, vcc
	v_mov_b32_e32 v9, v6
	s_nop 0
	v_addc_co_u32_e32 v11, vcc, 0, v11, vcc
	v_lshl_add_u64 v[6:7], v[8:9], 0, v[10:11]
	v_mul_lo_u32 v10, s23, v6
	v_mul_lo_u32 v11, s22, v7
	v_mad_u64_u32 v[8:9], s[2:3], s22, v6, 0
	v_add3_u32 v12, v9, v11, v10
	v_sub_u32_e32 v9, v5, v12
	v_mov_b32_e32 v10, s23
	v_sub_co_u32_e32 v13, vcc, v14, v8
	s_nop 1
	v_subb_co_u32_e64 v8, s[2:3], v9, v10, vcc
	v_subrev_co_u32_e64 v9, s[2:3], s22, v13
	v_subb_co_u32_e32 v5, vcc, v5, v12, vcc
	s_nop 0
	v_subbrev_co_u32_e64 v8, s[2:3], 0, v8, s[2:3]
	v_cmp_le_u32_e64 s[2:3], s23, v8
	v_cmp_le_u32_e32 vcc, s23, v5
	s_nop 0
	v_cndmask_b32_e64 v10, 0, -1, s[2:3]
	v_cmp_le_u32_e64 s[2:3], s22, v9
	s_nop 1
	v_cndmask_b32_e64 v9, 0, -1, s[2:3]
	v_cmp_eq_u32_e64 s[2:3], s23, v8
	s_nop 1
	v_cndmask_b32_e64 v14, v10, v9, s[2:3]
	v_lshl_add_u64 v[8:9], v[6:7], 0, 2
	v_lshl_add_u64 v[10:11], v[6:7], 0, 1
	v_cmp_ne_u32_e64 s[2:3], 0, v14
	s_nop 1
	v_cndmask_b32_e64 v9, v11, v9, s[2:3]
	v_cndmask_b32_e64 v11, 0, -1, vcc
	v_cmp_le_u32_e32 vcc, s22, v13
	s_nop 1
	v_cndmask_b32_e64 v12, 0, -1, vcc
	v_cmp_eq_u32_e32 vcc, s23, v5
	s_nop 1
	v_cndmask_b32_e32 v5, v11, v12, vcc
	v_cmp_ne_u32_e32 vcc, 0, v5
	s_nop 1
	v_cndmask_b32_e32 v5, v7, v9, vcc
	v_cndmask_b32_e64 v7, v10, v8, s[2:3]
	v_cndmask_b32_e32 v6, v6, v7, vcc
	v_xor_b32_e32 v7, s14, v4
	v_xor_b32_e32 v4, v6, v7
	;; [unrolled: 1-line block ×3, first 2 shown]
	v_sub_co_u32_e32 v4, vcc, v4, v7
	s_nop 1
	v_subb_co_u32_e32 v5, vcc, v5, v7, vcc
.LBB38_4:
	s_andn2_saveexec_b64 s[2:3], s[4:5]
	s_cbranch_execz .LBB38_6
; %bb.5:
	v_cvt_f32_u32_e32 v4, s16
	s_sub_i32 s4, 0, s16
	v_rcp_iflag_f32_e32 v4, v4
	s_nop 0
	v_mul_f32_e32 v4, 0x4f7ffffe, v4
	v_cvt_u32_f32_e32 v4, v4
	v_mul_lo_u32 v5, s4, v4
	v_mul_hi_u32 v5, v4, v5
	v_add_u32_e32 v4, v4, v5
	v_mul_hi_u32 v4, v2, v4
	v_mul_lo_u32 v5, v4, s16
	v_sub_u32_e32 v5, v2, v5
	v_add_u32_e32 v6, 1, v4
	v_subrev_u32_e32 v7, s16, v5
	v_cmp_le_u32_e32 vcc, s16, v5
	s_nop 1
	v_cndmask_b32_e32 v5, v5, v7, vcc
	v_cndmask_b32_e32 v4, v4, v6, vcc
	v_add_u32_e32 v6, 1, v4
	v_cmp_le_u32_e32 vcc, s16, v5
	v_mov_b32_e32 v5, 0
	s_nop 0
	v_cndmask_b32_e32 v4, v4, v6, vcc
.LBB38_6:
	s_or_b64 exec, exec, s[2:3]
	v_mul_lo_u32 v5, v5, s16
	v_mul_lo_u32 v6, v4, s17
	v_mad_u64_u32 v[8:9], s[2:3], v4, s16, 0
	v_add3_u32 v5, v9, v6, v5
	v_sub_co_u32_e32 v6, vcc, v2, v8
	v_mov_b32_e32 v12, 0
	s_nop 0
	v_subb_co_u32_e32 v7, vcc, v3, v5, vcc
	v_or_b32_e32 v13, s11, v7
	v_cmp_ne_u64_e32 vcc, 0, v[12:13]
                                        ; implicit-def: $vgpr10_vgpr11
	s_and_saveexec_b64 s[2:3], vcc
	s_xor_b64 s[4:5], exec, s[2:3]
	s_cbranch_execz .LBB38_8
; %bb.7:
	s_ashr_i32 s14, s11, 31
	s_add_u32 s2, s10, s14
	s_mov_b32 s15, s14
	s_addc_u32 s3, s11, s14
	s_xor_b64 s[16:17], s[2:3], s[14:15]
	v_cvt_f32_u32_e32 v5, s16
	v_cvt_f32_u32_e32 v9, s17
	s_sub_u32 s15, 0, s16
	s_subb_u32 s22, 0, s17
	v_ashrrev_i32_e32 v10, 31, v7
	v_fmamk_f32 v5, v9, 0x4f800000, v5
	v_rcp_f32_e32 v5, v5
	v_mov_b32_e32 v11, v10
	v_lshl_add_u64 v[14:15], v[6:7], 0, v[10:11]
	v_mov_b32_e32 v17, v12
	v_mul_f32_e32 v5, 0x5f7ffffc, v5
	v_mul_f32_e32 v9, 0x2f800000, v5
	v_trunc_f32_e32 v9, v9
	v_fmamk_f32 v5, v9, 0xcf800000, v5
	v_cvt_u32_f32_e32 v9, v9
	v_cvt_u32_f32_e32 v5, v5
	v_readfirstlane_b32 s23, v9
	v_readfirstlane_b32 s2, v5
	s_mul_i32 s3, s15, s23
	s_mul_hi_u32 s25, s15, s2
	s_mul_i32 s24, s22, s2
	s_add_i32 s3, s25, s3
	s_add_i32 s3, s3, s24
	s_mul_i32 s26, s15, s2
	s_mul_i32 s25, s2, s3
	s_mul_hi_u32 s27, s2, s26
	s_mul_hi_u32 s24, s2, s3
	s_add_u32 s25, s27, s25
	s_addc_u32 s24, 0, s24
	s_mul_hi_u32 s28, s23, s26
	s_mul_i32 s26, s23, s26
	s_add_u32 s25, s25, s26
	s_mul_hi_u32 s27, s23, s3
	s_addc_u32 s24, s24, s28
	s_addc_u32 s25, s27, 0
	s_mul_i32 s3, s23, s3
	s_add_u32 s3, s24, s3
	s_addc_u32 s24, 0, s25
	s_add_u32 s25, s2, s3
	s_cselect_b64 s[2:3], -1, 0
	s_cmp_lg_u64 s[2:3], 0
	s_addc_u32 s23, s23, s24
	s_mul_i32 s2, s15, s23
	s_mul_hi_u32 s3, s15, s25
	s_add_i32 s2, s3, s2
	s_mul_i32 s22, s22, s25
	s_add_i32 s2, s2, s22
	s_mul_i32 s15, s15, s25
	s_mul_hi_u32 s22, s23, s15
	s_mul_i32 s24, s23, s15
	s_mul_i32 s27, s25, s2
	s_mul_hi_u32 s15, s25, s15
	s_mul_hi_u32 s26, s25, s2
	s_add_u32 s15, s15, s27
	s_addc_u32 s26, 0, s26
	s_add_u32 s15, s15, s24
	s_mul_hi_u32 s3, s23, s2
	s_addc_u32 s15, s26, s22
	s_addc_u32 s3, s3, 0
	s_mul_i32 s2, s23, s2
	s_add_u32 s2, s15, s2
	s_addc_u32 s15, 0, s3
	s_add_u32 s22, s25, s2
	s_cselect_b64 s[2:3], -1, 0
	s_cmp_lg_u64 s[2:3], 0
	s_addc_u32 s15, s23, s15
	v_xor_b32_e32 v9, v14, v10
	v_xor_b32_e32 v5, v15, v10
	v_mad_u64_u32 v[14:15], s[2:3], v9, s15, 0
	v_mul_hi_u32 v16, v9, s22
	v_lshl_add_u64 v[14:15], v[16:17], 0, v[14:15]
	v_mad_u64_u32 v[18:19], s[2:3], v5, s22, 0
	v_add_co_u32_e32 v11, vcc, v14, v18
	v_mad_u64_u32 v[16:17], s[2:3], v5, s15, 0
	s_nop 0
	v_addc_co_u32_e32 v14, vcc, v15, v19, vcc
	v_mov_b32_e32 v15, v12
	s_nop 0
	v_addc_co_u32_e32 v17, vcc, 0, v17, vcc
	v_lshl_add_u64 v[12:13], v[14:15], 0, v[16:17]
	v_mul_lo_u32 v11, s17, v12
	v_mul_lo_u32 v16, s16, v13
	v_mad_u64_u32 v[14:15], s[2:3], s16, v12, 0
	v_add3_u32 v11, v15, v16, v11
	v_sub_u32_e32 v15, v5, v11
	v_mov_b32_e32 v16, s17
	v_sub_co_u32_e32 v9, vcc, v9, v14
	s_nop 1
	v_subb_co_u32_e64 v14, s[2:3], v15, v16, vcc
	v_subrev_co_u32_e64 v15, s[2:3], s16, v9
	v_subb_co_u32_e32 v5, vcc, v5, v11, vcc
	s_nop 0
	v_subbrev_co_u32_e64 v14, s[2:3], 0, v14, s[2:3]
	v_cmp_le_u32_e64 s[2:3], s17, v14
	v_cmp_le_u32_e32 vcc, s17, v5
	s_nop 0
	v_cndmask_b32_e64 v16, 0, -1, s[2:3]
	v_cmp_le_u32_e64 s[2:3], s16, v15
	v_cndmask_b32_e64 v11, 0, -1, vcc
	v_cmp_le_u32_e32 vcc, s16, v9
	v_cndmask_b32_e64 v15, 0, -1, s[2:3]
	v_cmp_eq_u32_e64 s[2:3], s17, v14
	v_cndmask_b32_e64 v9, 0, -1, vcc
	v_cmp_eq_u32_e32 vcc, s17, v5
	v_cndmask_b32_e64 v18, v16, v15, s[2:3]
	v_lshl_add_u64 v[14:15], v[12:13], 0, 2
	v_lshl_add_u64 v[16:17], v[12:13], 0, 1
	v_cmp_ne_u32_e64 s[2:3], 0, v18
	v_cndmask_b32_e32 v5, v11, v9, vcc
	v_cmp_ne_u32_e32 vcc, 0, v5
	v_cndmask_b32_e64 v9, v16, v14, s[2:3]
	v_cndmask_b32_e64 v15, v17, v15, s[2:3]
	v_cndmask_b32_e32 v9, v12, v9, vcc
	v_xor_b32_e32 v11, s14, v10
	v_cndmask_b32_e32 v5, v13, v15, vcc
	v_xor_b32_e32 v9, v9, v11
	v_xor_b32_e32 v5, v5, v11
	v_sub_co_u32_e32 v10, vcc, v9, v11
	s_nop 1
	v_subb_co_u32_e32 v11, vcc, v5, v11, vcc
.LBB38_8:
	s_or_saveexec_b64 s[2:3], s[4:5]
	s_load_dword s4, s[6:7], 0x0
	s_xor_b64 exec, exec, s[2:3]
	s_cbranch_execz .LBB38_10
; %bb.9:
	v_cvt_f32_u32_e32 v5, s10
	s_sub_i32 s5, 0, s10
	v_rcp_iflag_f32_e32 v5, v5
	s_nop 0
	v_mul_f32_e32 v5, 0x4f7ffffe, v5
	v_cvt_u32_f32_e32 v5, v5
	v_mul_lo_u32 v9, s5, v5
	v_mul_hi_u32 v9, v5, v9
	v_add_u32_e32 v5, v5, v9
	v_mul_hi_u32 v5, v6, v5
	v_mul_lo_u32 v9, v5, s10
	v_sub_u32_e32 v9, v6, v9
	v_add_u32_e32 v10, 1, v5
	v_subrev_u32_e32 v11, s10, v9
	v_cmp_le_u32_e32 vcc, s10, v9
	s_nop 1
	v_cndmask_b32_e32 v9, v9, v11, vcc
	v_cndmask_b32_e32 v5, v5, v10, vcc
	v_add_u32_e32 v10, 1, v5
	v_cmp_le_u32_e32 vcc, s10, v9
	v_mov_b32_e32 v11, 0
	s_nop 0
	v_cndmask_b32_e32 v10, v5, v10, vcc
.LBB38_10:
	s_or_b64 exec, exec, s[2:3]
	s_load_dwordx2 s[2:3], s[0:1], 0x20
	s_load_dwordx8 s[24:31], s[0:1], 0x0
	v_lshlrev_b64 v[2:3], 2, v[2:3]
	v_ashrrev_i32_e32 v18, 31, v4
	v_mul_lo_u32 v22, v11, s10
	s_waitcnt lgkmcnt(0)
	v_lshl_add_u64 v[12:13], s[2:3], 0, v[2:3]
	global_load_dword v12, v[12:13], off
	v_lshl_add_u64 v[2:3], s[26:27], 0, v[2:3]
	global_load_dword v13, v[2:3], off
	v_mul_lo_u32 v23, v10, s11
	v_mad_u64_u32 v[16:17], s[0:1], v10, s10, 0
	v_mul_lo_u32 v19, v4, s19
	v_mad_u64_u32 v[2:3], s[0:1], v4, s18, 0
	v_mul_lo_u32 v25, v18, s18
	v_add3_u32 v17, v17, v23, v22
	v_sub_co_u32_e32 v16, vcc, v6, v16
	v_mul_lo_u32 v20, v11, s12
	v_mul_lo_u32 v21, v10, s13
	v_mad_u64_u32 v[14:15], s[0:1], v10, s12, 0
	v_mul_lo_u32 v24, v4, s21
	v_mad_u64_u32 v[4:5], s[0:1], v4, s20, 0
	v_mul_lo_u32 v18, v18, s20
	v_add3_u32 v3, v3, v19, v25
	v_subb_co_u32_e32 v19, vcc, v7, v17, vcc
	v_mad_u64_u32 v[6:7], s[0:1], v16, s8, v[10:11]
	v_add3_u32 v15, v15, v21, v20
	v_mul_lo_u32 v20, v16, s9
	v_add3_u32 v5, v5, v24, v18
	v_mul_lo_u32 v18, v16, s13
	v_mad_u64_u32 v[10:11], s[0:1], v16, s12, 0
	v_mul_lo_u32 v21, v19, s8
	v_mul_lo_u32 v22, v6, s13
	v_mad_u64_u32 v[16:17], s[0:1], v6, s12, 0
	v_mul_lo_u32 v6, v19, s12
	v_mul_lo_u32 v9, s12, v8
	v_mov_b32_e32 v8, 0
	v_add3_u32 v20, v21, v7, v20
	v_add3_u32 v11, v11, v18, v6
	v_mov_b32_e32 v6, s28
	v_mov_b32_e32 v7, s29
	s_mul_i32 s2, s4, s33
	v_ashrrev_i64 v[8:9], 30, v[8:9]
	v_mov_b32_e32 v18, s30
	v_mov_b32_e32 v19, s31
	v_mul_lo_u32 v20, v20, s12
	v_lshl_add_u64 v[2:3], v[2:3], 2, v[6:7]
	v_lshlrev_b64 v[0:1], 2, v[0:1]
	s_ashr_i32 s3, s2, 31
	v_lshl_add_u64 v[8:9], s[24:25], 0, v[8:9]
	v_add3_u32 v17, v17, v22, v20
	v_lshl_add_u64 v[6:7], v[4:5], 2, v[18:19]
	v_lshl_add_u64 v[2:3], v[14:15], 2, v[2:3]
	s_lshl_b64 s[4:5], s[2:3], 2
	v_lshl_add_u64 v[4:5], v[16:17], 2, v[8:9]
	v_lshl_add_u64 v[6:7], v[10:11], 2, v[6:7]
	;; [unrolled: 1-line block ×4, first 2 shown]
	s_mov_b64 s[6:7], 0
	s_waitcnt vmcnt(1)
	v_cmp_neq_f32_e64 s[0:1], 0, v12
	s_branch .LBB38_12
.LBB38_11:                              ;   in Loop: Header=BB38_12 Depth=1
	s_or_b64 exec, exec, s[8:9]
	v_lshl_add_u64 v[10:11], s[2:3], 2, v[10:11]
	v_cmp_ge_u64_e32 vcc, v[10:11], v[8:9]
	v_lshl_add_u64 v[16:17], v[4:5], 0, v[0:1]
	s_or_b64 s[6:7], vcc, s[6:7]
	v_lshl_add_u64 v[0:1], v[0:1], 0, s[4:5]
	global_store_dword v[16:17], v14, off
	s_andn2_b64 exec, exec, s[6:7]
	s_cbranch_execz .LBB38_14
.LBB38_12:                              ; =>This Inner Loop Header: Depth=1
	v_mov_b32_e32 v14, 0
	s_and_saveexec_b64 s[8:9], s[0:1]
	s_cbranch_execz .LBB38_11
; %bb.13:                               ;   in Loop: Header=BB38_12 Depth=1
	v_lshl_add_u64 v[16:17], v[2:3], 0, v[0:1]
	v_lshl_add_u64 v[14:15], v[6:7], 0, v[0:1]
	global_load_dword v18, v[16:17], off
	global_load_dword v19, v[14:15], off
	s_waitcnt vmcnt(0)
	v_sub_f32_e32 v14, v18, v19
	v_mul_f32_e32 v14, v13, v14
	v_div_scale_f32 v15, s[10:11], v12, v12, v14
	v_rcp_f32_e32 v16, v15
	v_div_scale_f32 v17, vcc, v14, v12, v14
	v_fma_f32 v18, -v15, v16, 1.0
	v_fmac_f32_e32 v16, v18, v16
	v_mul_f32_e32 v18, v17, v16
	v_fma_f32 v19, -v15, v18, v17
	v_fmac_f32_e32 v18, v19, v16
	v_fma_f32 v15, -v15, v18, v17
	v_div_fmas_f32 v15, v15, v16, v18
	v_div_fixup_f32 v14, v15, v12, v14
	s_branch .LBB38_11
.LBB38_14:
	s_endpgm
	.section	.rodata,"a",@progbits
	.p2align	6, 0x0
	.amdhsa_kernel _ZN2at6native12_GLOBAL__N_131cdist_backward_kernel_cuda_implIfNS1_5distsIfE3twoEEEvPT_PKS6_S9_S9_S9_S6_lllllll
		.amdhsa_group_segment_fixed_size 0
		.amdhsa_private_segment_fixed_size 0
		.amdhsa_kernarg_size 360
		.amdhsa_user_sgpr_count 2
		.amdhsa_user_sgpr_dispatch_ptr 0
		.amdhsa_user_sgpr_queue_ptr 0
		.amdhsa_user_sgpr_kernarg_segment_ptr 1
		.amdhsa_user_sgpr_dispatch_id 0
		.amdhsa_user_sgpr_kernarg_preload_length 0
		.amdhsa_user_sgpr_kernarg_preload_offset 0
		.amdhsa_user_sgpr_private_segment_size 0
		.amdhsa_uses_dynamic_stack 0
		.amdhsa_enable_private_segment 0
		.amdhsa_system_sgpr_workgroup_id_x 1
		.amdhsa_system_sgpr_workgroup_id_y 1
		.amdhsa_system_sgpr_workgroup_id_z 1
		.amdhsa_system_sgpr_workgroup_info 0
		.amdhsa_system_vgpr_workitem_id 1
		.amdhsa_next_free_vgpr 26
		.amdhsa_next_free_sgpr 34
		.amdhsa_accum_offset 28
		.amdhsa_reserve_vcc 1
		.amdhsa_float_round_mode_32 0
		.amdhsa_float_round_mode_16_64 0
		.amdhsa_float_denorm_mode_32 3
		.amdhsa_float_denorm_mode_16_64 3
		.amdhsa_dx10_clamp 1
		.amdhsa_ieee_mode 1
		.amdhsa_fp16_overflow 0
		.amdhsa_tg_split 0
		.amdhsa_exception_fp_ieee_invalid_op 0
		.amdhsa_exception_fp_denorm_src 0
		.amdhsa_exception_fp_ieee_div_zero 0
		.amdhsa_exception_fp_ieee_overflow 0
		.amdhsa_exception_fp_ieee_underflow 0
		.amdhsa_exception_fp_ieee_inexact 0
		.amdhsa_exception_int_div_zero 0
	.end_amdhsa_kernel
	.section	.text._ZN2at6native12_GLOBAL__N_131cdist_backward_kernel_cuda_implIfNS1_5distsIfE3twoEEEvPT_PKS6_S9_S9_S9_S6_lllllll,"axG",@progbits,_ZN2at6native12_GLOBAL__N_131cdist_backward_kernel_cuda_implIfNS1_5distsIfE3twoEEEvPT_PKS6_S9_S9_S9_S6_lllllll,comdat
.Lfunc_end38:
	.size	_ZN2at6native12_GLOBAL__N_131cdist_backward_kernel_cuda_implIfNS1_5distsIfE3twoEEEvPT_PKS6_S9_S9_S9_S6_lllllll, .Lfunc_end38-_ZN2at6native12_GLOBAL__N_131cdist_backward_kernel_cuda_implIfNS1_5distsIfE3twoEEEvPT_PKS6_S9_S9_S9_S6_lllllll
                                        ; -- End function
	.set _ZN2at6native12_GLOBAL__N_131cdist_backward_kernel_cuda_implIfNS1_5distsIfE3twoEEEvPT_PKS6_S9_S9_S9_S6_lllllll.num_vgpr, 26
	.set _ZN2at6native12_GLOBAL__N_131cdist_backward_kernel_cuda_implIfNS1_5distsIfE3twoEEEvPT_PKS6_S9_S9_S9_S6_lllllll.num_agpr, 0
	.set _ZN2at6native12_GLOBAL__N_131cdist_backward_kernel_cuda_implIfNS1_5distsIfE3twoEEEvPT_PKS6_S9_S9_S9_S6_lllllll.numbered_sgpr, 34
	.set _ZN2at6native12_GLOBAL__N_131cdist_backward_kernel_cuda_implIfNS1_5distsIfE3twoEEEvPT_PKS6_S9_S9_S9_S6_lllllll.num_named_barrier, 0
	.set _ZN2at6native12_GLOBAL__N_131cdist_backward_kernel_cuda_implIfNS1_5distsIfE3twoEEEvPT_PKS6_S9_S9_S9_S6_lllllll.private_seg_size, 0
	.set _ZN2at6native12_GLOBAL__N_131cdist_backward_kernel_cuda_implIfNS1_5distsIfE3twoEEEvPT_PKS6_S9_S9_S9_S6_lllllll.uses_vcc, 1
	.set _ZN2at6native12_GLOBAL__N_131cdist_backward_kernel_cuda_implIfNS1_5distsIfE3twoEEEvPT_PKS6_S9_S9_S9_S6_lllllll.uses_flat_scratch, 0
	.set _ZN2at6native12_GLOBAL__N_131cdist_backward_kernel_cuda_implIfNS1_5distsIfE3twoEEEvPT_PKS6_S9_S9_S9_S6_lllllll.has_dyn_sized_stack, 0
	.set _ZN2at6native12_GLOBAL__N_131cdist_backward_kernel_cuda_implIfNS1_5distsIfE3twoEEEvPT_PKS6_S9_S9_S9_S6_lllllll.has_recursion, 0
	.set _ZN2at6native12_GLOBAL__N_131cdist_backward_kernel_cuda_implIfNS1_5distsIfE3twoEEEvPT_PKS6_S9_S9_S9_S6_lllllll.has_indirect_call, 0
	.section	.AMDGPU.csdata,"",@progbits
; Kernel info:
; codeLenInByte = 2380
; TotalNumSgprs: 40
; NumVgprs: 26
; NumAgprs: 0
; TotalNumVgprs: 26
; ScratchSize: 0
; MemoryBound: 0
; FloatMode: 240
; IeeeMode: 1
; LDSByteSize: 0 bytes/workgroup (compile time only)
; SGPRBlocks: 4
; VGPRBlocks: 3
; NumSGPRsForWavesPerEU: 40
; NumVGPRsForWavesPerEU: 26
; AccumOffset: 28
; Occupancy: 8
; WaveLimiterHint : 0
; COMPUTE_PGM_RSRC2:SCRATCH_EN: 0
; COMPUTE_PGM_RSRC2:USER_SGPR: 2
; COMPUTE_PGM_RSRC2:TRAP_HANDLER: 0
; COMPUTE_PGM_RSRC2:TGID_X_EN: 1
; COMPUTE_PGM_RSRC2:TGID_Y_EN: 1
; COMPUTE_PGM_RSRC2:TGID_Z_EN: 1
; COMPUTE_PGM_RSRC2:TIDIG_COMP_CNT: 1
; COMPUTE_PGM_RSRC3_GFX90A:ACCUM_OFFSET: 6
; COMPUTE_PGM_RSRC3_GFX90A:TG_SPLIT: 0
	.section	.text._ZN2at6native12_GLOBAL__N_131cdist_backward_kernel_cuda_implIfNS1_5distsIfE3infEEEvPT_PKS6_S9_S9_S9_S6_lllllll,"axG",@progbits,_ZN2at6native12_GLOBAL__N_131cdist_backward_kernel_cuda_implIfNS1_5distsIfE3infEEEvPT_PKS6_S9_S9_S9_S6_lllllll,comdat
	.globl	_ZN2at6native12_GLOBAL__N_131cdist_backward_kernel_cuda_implIfNS1_5distsIfE3infEEEvPT_PKS6_S9_S9_S9_S6_lllllll ; -- Begin function _ZN2at6native12_GLOBAL__N_131cdist_backward_kernel_cuda_implIfNS1_5distsIfE3infEEEvPT_PKS6_S9_S9_S9_S6_lllllll
	.p2align	8
	.type	_ZN2at6native12_GLOBAL__N_131cdist_backward_kernel_cuda_implIfNS1_5distsIfE3infEEEvPT_PKS6_S9_S9_S9_S6_lllllll,@function
_ZN2at6native12_GLOBAL__N_131cdist_backward_kernel_cuda_implIfNS1_5distsIfE3infEEEvPT_PKS6_S9_S9_S9_S6_lllllll: ; @_ZN2at6native12_GLOBAL__N_131cdist_backward_kernel_cuda_implIfNS1_5distsIfE3infEEEvPT_PKS6_S9_S9_S9_S6_lllllll
; %bb.0:
	s_load_dwordx2 s[24:25], s[0:1], 0x70
	s_load_dwordx8 s[8:15], s[0:1], 0x30
	s_add_u32 s6, s0, 0x68
	s_addc_u32 s7, s1, 0
	v_bfe_u32 v1, v0, 10, 10
	s_waitcnt lgkmcnt(0)
	s_mul_i32 s3, s24, s3
	s_add_i32 s3, s3, s4
	s_lshr_b32 s4, s25, 16
	s_mul_i32 s3, s3, s4
	v_add_u32_e32 v2, s3, v1
	v_ashrrev_i32_e32 v3, 31, v2
	v_cmp_gt_i64_e32 vcc, s[14:15], v[2:3]
	s_and_saveexec_b64 s[4:5], vcc
	s_cbranch_execz .LBB39_12
; %bb.1:
	s_load_dwordx8 s[16:23], s[0:1], 0x50
	s_and_b32 s33, s25, 0xffff
	s_mul_i32 s2, s2, s33
	v_and_b32_e32 v0, 0x3ff, v0
	v_add_u32_e32 v0, s2, v0
	v_ashrrev_i32_e32 v1, 31, v0
	v_cmp_gt_i64_e32 vcc, s[12:13], v[0:1]
	s_and_b64 exec, exec, vcc
	s_cbranch_execz .LBB39_12
; %bb.2:
	s_waitcnt lgkmcnt(0)
	v_or_b32_e32 v7, s17, v3
	v_mov_b32_e32 v6, 0
	v_cmp_ne_u64_e32 vcc, 0, v[6:7]
                                        ; implicit-def: $vgpr4_vgpr5
	s_and_saveexec_b64 s[2:3], vcc
	s_xor_b64 s[4:5], exec, s[2:3]
	s_cbranch_execz .LBB39_4
; %bb.3:
	s_ashr_i32 s14, s17, 31
	s_add_u32 s2, s16, s14
	s_mov_b32 s15, s14
	s_addc_u32 s3, s17, s14
	s_xor_b64 s[22:23], s[2:3], s[14:15]
	v_cvt_f32_u32_e32 v4, s22
	v_cvt_f32_u32_e32 v5, s23
	s_sub_u32 s15, 0, s22
	s_subb_u32 s24, 0, s23
	v_mov_b32_e32 v11, v6
	v_fmamk_f32 v4, v5, 0x4f800000, v4
	v_rcp_f32_e32 v4, v4
	s_nop 0
	v_mul_f32_e32 v4, 0x5f7ffffc, v4
	v_mul_f32_e32 v5, 0x2f800000, v4
	v_trunc_f32_e32 v5, v5
	v_fmamk_f32 v4, v5, 0xcf800000, v4
	v_cvt_u32_f32_e32 v5, v5
	v_cvt_u32_f32_e32 v4, v4
	v_readfirstlane_b32 s25, v5
	v_readfirstlane_b32 s2, v4
	s_mul_i32 s3, s15, s25
	s_mul_hi_u32 s27, s15, s2
	s_mul_i32 s26, s24, s2
	s_add_i32 s3, s27, s3
	s_add_i32 s3, s3, s26
	s_mul_i32 s28, s15, s2
	s_mul_i32 s27, s2, s3
	s_mul_hi_u32 s29, s2, s28
	s_mul_hi_u32 s26, s2, s3
	s_add_u32 s27, s29, s27
	s_addc_u32 s26, 0, s26
	s_mul_hi_u32 s30, s25, s28
	s_mul_i32 s28, s25, s28
	s_add_u32 s27, s27, s28
	s_mul_hi_u32 s29, s25, s3
	s_addc_u32 s26, s26, s30
	s_addc_u32 s27, s29, 0
	s_mul_i32 s3, s25, s3
	s_add_u32 s3, s26, s3
	s_addc_u32 s26, 0, s27
	s_add_u32 s27, s2, s3
	s_cselect_b64 s[2:3], -1, 0
	s_cmp_lg_u64 s[2:3], 0
	s_addc_u32 s25, s25, s26
	s_mul_i32 s2, s15, s25
	s_mul_hi_u32 s3, s15, s27
	s_add_i32 s2, s3, s2
	s_mul_i32 s24, s24, s27
	s_add_i32 s2, s2, s24
	s_mul_i32 s15, s15, s27
	s_mul_hi_u32 s24, s25, s15
	s_mul_i32 s26, s25, s15
	s_mul_i32 s29, s27, s2
	s_mul_hi_u32 s15, s27, s15
	s_mul_hi_u32 s28, s27, s2
	s_add_u32 s15, s15, s29
	s_addc_u32 s28, 0, s28
	s_add_u32 s15, s15, s26
	s_mul_hi_u32 s3, s25, s2
	s_addc_u32 s15, s28, s24
	s_addc_u32 s3, s3, 0
	s_mul_i32 s2, s25, s2
	s_add_u32 s2, s15, s2
	s_addc_u32 s15, 0, s3
	s_add_u32 s24, s27, s2
	v_ashrrev_i32_e32 v4, 31, v3
	s_cselect_b64 s[2:3], -1, 0
	v_mov_b32_e32 v5, v4
	s_cmp_lg_u64 s[2:3], 0
	v_lshl_add_u64 v[8:9], v[2:3], 0, v[4:5]
	s_addc_u32 s15, s25, s15
	v_xor_b32_e32 v14, v8, v4
	v_xor_b32_e32 v5, v9, v4
	v_mad_u64_u32 v[8:9], s[2:3], v14, s15, 0
	v_mul_hi_u32 v10, v14, s24
	v_lshl_add_u64 v[8:9], v[10:11], 0, v[8:9]
	v_mad_u64_u32 v[12:13], s[2:3], v5, s24, 0
	v_add_co_u32_e32 v7, vcc, v8, v12
	v_mad_u64_u32 v[10:11], s[2:3], v5, s15, 0
	s_nop 0
	v_addc_co_u32_e32 v8, vcc, v9, v13, vcc
	v_mov_b32_e32 v9, v6
	s_nop 0
	v_addc_co_u32_e32 v11, vcc, 0, v11, vcc
	v_lshl_add_u64 v[6:7], v[8:9], 0, v[10:11]
	v_mul_lo_u32 v10, s23, v6
	v_mul_lo_u32 v11, s22, v7
	v_mad_u64_u32 v[8:9], s[2:3], s22, v6, 0
	v_add3_u32 v12, v9, v11, v10
	v_sub_u32_e32 v9, v5, v12
	v_mov_b32_e32 v10, s23
	v_sub_co_u32_e32 v13, vcc, v14, v8
	s_nop 1
	v_subb_co_u32_e64 v8, s[2:3], v9, v10, vcc
	v_subrev_co_u32_e64 v9, s[2:3], s22, v13
	v_subb_co_u32_e32 v5, vcc, v5, v12, vcc
	s_nop 0
	v_subbrev_co_u32_e64 v8, s[2:3], 0, v8, s[2:3]
	v_cmp_le_u32_e64 s[2:3], s23, v8
	v_cmp_le_u32_e32 vcc, s23, v5
	s_nop 0
	v_cndmask_b32_e64 v10, 0, -1, s[2:3]
	v_cmp_le_u32_e64 s[2:3], s22, v9
	s_nop 1
	v_cndmask_b32_e64 v9, 0, -1, s[2:3]
	v_cmp_eq_u32_e64 s[2:3], s23, v8
	s_nop 1
	v_cndmask_b32_e64 v14, v10, v9, s[2:3]
	v_lshl_add_u64 v[8:9], v[6:7], 0, 2
	v_lshl_add_u64 v[10:11], v[6:7], 0, 1
	v_cmp_ne_u32_e64 s[2:3], 0, v14
	s_nop 1
	v_cndmask_b32_e64 v9, v11, v9, s[2:3]
	v_cndmask_b32_e64 v11, 0, -1, vcc
	v_cmp_le_u32_e32 vcc, s22, v13
	s_nop 1
	v_cndmask_b32_e64 v12, 0, -1, vcc
	v_cmp_eq_u32_e32 vcc, s23, v5
	s_nop 1
	v_cndmask_b32_e32 v5, v11, v12, vcc
	v_cmp_ne_u32_e32 vcc, 0, v5
	s_nop 1
	v_cndmask_b32_e32 v5, v7, v9, vcc
	v_cndmask_b32_e64 v7, v10, v8, s[2:3]
	v_cndmask_b32_e32 v6, v6, v7, vcc
	v_xor_b32_e32 v7, s14, v4
	v_xor_b32_e32 v4, v6, v7
	;; [unrolled: 1-line block ×3, first 2 shown]
	v_sub_co_u32_e32 v4, vcc, v4, v7
	s_nop 1
	v_subb_co_u32_e32 v5, vcc, v5, v7, vcc
.LBB39_4:
	s_andn2_saveexec_b64 s[2:3], s[4:5]
	s_cbranch_execz .LBB39_6
; %bb.5:
	v_cvt_f32_u32_e32 v4, s16
	s_sub_i32 s4, 0, s16
	v_rcp_iflag_f32_e32 v4, v4
	s_nop 0
	v_mul_f32_e32 v4, 0x4f7ffffe, v4
	v_cvt_u32_f32_e32 v4, v4
	v_mul_lo_u32 v5, s4, v4
	v_mul_hi_u32 v5, v4, v5
	v_add_u32_e32 v4, v4, v5
	v_mul_hi_u32 v4, v2, v4
	v_mul_lo_u32 v5, v4, s16
	v_sub_u32_e32 v5, v2, v5
	v_add_u32_e32 v6, 1, v4
	v_subrev_u32_e32 v7, s16, v5
	v_cmp_le_u32_e32 vcc, s16, v5
	s_nop 1
	v_cndmask_b32_e32 v5, v5, v7, vcc
	v_cndmask_b32_e32 v4, v4, v6, vcc
	v_add_u32_e32 v6, 1, v4
	v_cmp_le_u32_e32 vcc, s16, v5
	v_mov_b32_e32 v5, 0
	s_nop 0
	v_cndmask_b32_e32 v4, v4, v6, vcc
.LBB39_6:
	s_or_b64 exec, exec, s[2:3]
	v_mul_lo_u32 v5, v5, s16
	v_mul_lo_u32 v6, v4, s17
	v_mad_u64_u32 v[8:9], s[2:3], v4, s16, 0
	v_add3_u32 v5, v9, v6, v5
	v_sub_co_u32_e32 v6, vcc, v2, v8
	v_mov_b32_e32 v10, 0
	s_nop 0
	v_subb_co_u32_e32 v7, vcc, v3, v5, vcc
	v_or_b32_e32 v11, s11, v7
	v_cmp_ne_u64_e32 vcc, 0, v[10:11]
                                        ; implicit-def: $vgpr14_vgpr15
	s_and_saveexec_b64 s[2:3], vcc
	s_xor_b64 s[4:5], exec, s[2:3]
	s_cbranch_execz .LBB39_8
; %bb.7:
	s_ashr_i32 s14, s11, 31
	s_add_u32 s2, s10, s14
	s_mov_b32 s15, s14
	s_addc_u32 s3, s11, s14
	s_xor_b64 s[16:17], s[2:3], s[14:15]
	v_cvt_f32_u32_e32 v5, s16
	v_cvt_f32_u32_e32 v9, s17
	s_sub_u32 s15, 0, s16
	s_subb_u32 s22, 0, s17
	v_ashrrev_i32_e32 v12, 31, v7
	v_fmamk_f32 v5, v9, 0x4f800000, v5
	v_rcp_f32_e32 v5, v5
	v_mov_b32_e32 v13, v12
	v_lshl_add_u64 v[14:15], v[6:7], 0, v[12:13]
	v_mov_b32_e32 v17, v10
	v_mul_f32_e32 v5, 0x5f7ffffc, v5
	v_mul_f32_e32 v9, 0x2f800000, v5
	v_trunc_f32_e32 v9, v9
	v_fmamk_f32 v5, v9, 0xcf800000, v5
	v_cvt_u32_f32_e32 v9, v9
	v_cvt_u32_f32_e32 v5, v5
	v_readfirstlane_b32 s23, v9
	v_readfirstlane_b32 s2, v5
	s_mul_i32 s3, s15, s23
	s_mul_hi_u32 s25, s15, s2
	s_mul_i32 s24, s22, s2
	s_add_i32 s3, s25, s3
	s_add_i32 s3, s3, s24
	s_mul_i32 s26, s15, s2
	s_mul_i32 s25, s2, s3
	s_mul_hi_u32 s27, s2, s26
	s_mul_hi_u32 s24, s2, s3
	s_add_u32 s25, s27, s25
	s_addc_u32 s24, 0, s24
	s_mul_hi_u32 s28, s23, s26
	s_mul_i32 s26, s23, s26
	s_add_u32 s25, s25, s26
	s_mul_hi_u32 s27, s23, s3
	s_addc_u32 s24, s24, s28
	s_addc_u32 s25, s27, 0
	s_mul_i32 s3, s23, s3
	s_add_u32 s3, s24, s3
	s_addc_u32 s24, 0, s25
	s_add_u32 s25, s2, s3
	s_cselect_b64 s[2:3], -1, 0
	s_cmp_lg_u64 s[2:3], 0
	s_addc_u32 s23, s23, s24
	s_mul_i32 s2, s15, s23
	s_mul_hi_u32 s3, s15, s25
	s_add_i32 s2, s3, s2
	s_mul_i32 s22, s22, s25
	s_add_i32 s2, s2, s22
	s_mul_i32 s15, s15, s25
	s_mul_hi_u32 s22, s23, s15
	s_mul_i32 s24, s23, s15
	s_mul_i32 s27, s25, s2
	s_mul_hi_u32 s15, s25, s15
	s_mul_hi_u32 s26, s25, s2
	s_add_u32 s15, s15, s27
	s_addc_u32 s26, 0, s26
	s_add_u32 s15, s15, s24
	s_mul_hi_u32 s3, s23, s2
	s_addc_u32 s15, s26, s22
	s_addc_u32 s3, s3, 0
	s_mul_i32 s2, s23, s2
	s_add_u32 s2, s15, s2
	s_addc_u32 s15, 0, s3
	s_add_u32 s22, s25, s2
	s_cselect_b64 s[2:3], -1, 0
	s_cmp_lg_u64 s[2:3], 0
	s_addc_u32 s15, s23, s15
	v_xor_b32_e32 v9, v14, v12
	v_xor_b32_e32 v5, v15, v12
	v_mad_u64_u32 v[14:15], s[2:3], v9, s15, 0
	v_mul_hi_u32 v16, v9, s22
	v_lshl_add_u64 v[14:15], v[16:17], 0, v[14:15]
	v_mad_u64_u32 v[18:19], s[2:3], v5, s22, 0
	v_add_co_u32_e32 v11, vcc, v14, v18
	v_mad_u64_u32 v[16:17], s[2:3], v5, s15, 0
	s_nop 0
	v_addc_co_u32_e32 v14, vcc, v15, v19, vcc
	v_mov_b32_e32 v15, v10
	s_nop 0
	v_addc_co_u32_e32 v17, vcc, 0, v17, vcc
	v_lshl_add_u64 v[10:11], v[14:15], 0, v[16:17]
	v_mul_lo_u32 v13, s17, v10
	v_mul_lo_u32 v16, s16, v11
	v_mad_u64_u32 v[14:15], s[2:3], s16, v10, 0
	v_add3_u32 v13, v15, v16, v13
	v_sub_u32_e32 v15, v5, v13
	v_mov_b32_e32 v16, s17
	v_sub_co_u32_e32 v9, vcc, v9, v14
	s_nop 1
	v_subb_co_u32_e64 v14, s[2:3], v15, v16, vcc
	v_subrev_co_u32_e64 v15, s[2:3], s16, v9
	v_subb_co_u32_e32 v5, vcc, v5, v13, vcc
	s_nop 0
	v_subbrev_co_u32_e64 v14, s[2:3], 0, v14, s[2:3]
	v_cmp_le_u32_e64 s[2:3], s17, v14
	v_cmp_le_u32_e32 vcc, s17, v5
	s_nop 0
	v_cndmask_b32_e64 v16, 0, -1, s[2:3]
	v_cmp_le_u32_e64 s[2:3], s16, v15
	v_cndmask_b32_e64 v13, 0, -1, vcc
	v_cmp_le_u32_e32 vcc, s16, v9
	v_cndmask_b32_e64 v15, 0, -1, s[2:3]
	v_cmp_eq_u32_e64 s[2:3], s17, v14
	v_cndmask_b32_e64 v9, 0, -1, vcc
	v_cmp_eq_u32_e32 vcc, s17, v5
	v_cndmask_b32_e64 v18, v16, v15, s[2:3]
	v_lshl_add_u64 v[14:15], v[10:11], 0, 2
	v_lshl_add_u64 v[16:17], v[10:11], 0, 1
	v_cmp_ne_u32_e64 s[2:3], 0, v18
	v_cndmask_b32_e32 v5, v13, v9, vcc
	v_cmp_ne_u32_e32 vcc, 0, v5
	v_cndmask_b32_e64 v9, v16, v14, s[2:3]
	v_cndmask_b32_e64 v15, v17, v15, s[2:3]
	v_cndmask_b32_e32 v9, v10, v9, vcc
	v_xor_b32_e32 v10, s14, v12
	v_cndmask_b32_e32 v5, v11, v15, vcc
	v_xor_b32_e32 v9, v9, v10
	v_xor_b32_e32 v5, v5, v10
	v_sub_co_u32_e32 v14, vcc, v9, v10
	s_nop 1
	v_subb_co_u32_e32 v15, vcc, v5, v10, vcc
.LBB39_8:
	s_or_saveexec_b64 s[2:3], s[4:5]
	s_load_dword s4, s[6:7], 0x0
	s_xor_b64 exec, exec, s[2:3]
	s_cbranch_execz .LBB39_10
; %bb.9:
	v_cvt_f32_u32_e32 v5, s10
	s_sub_i32 s5, 0, s10
	v_mov_b32_e32 v15, 0
	v_rcp_iflag_f32_e32 v5, v5
	s_nop 0
	v_mul_f32_e32 v5, 0x4f7ffffe, v5
	v_cvt_u32_f32_e32 v5, v5
	v_mul_lo_u32 v9, s5, v5
	v_mul_hi_u32 v9, v5, v9
	v_add_u32_e32 v5, v5, v9
	v_mul_hi_u32 v5, v6, v5
	v_mul_lo_u32 v9, v5, s10
	v_sub_u32_e32 v9, v6, v9
	v_add_u32_e32 v10, 1, v5
	v_subrev_u32_e32 v11, s10, v9
	v_cmp_le_u32_e32 vcc, s10, v9
	s_nop 1
	v_cndmask_b32_e32 v9, v9, v11, vcc
	v_cndmask_b32_e32 v5, v5, v10, vcc
	v_add_u32_e32 v10, 1, v5
	v_cmp_le_u32_e32 vcc, s10, v9
	s_nop 1
	v_cndmask_b32_e32 v14, v5, v10, vcc
.LBB39_10:
	s_or_b64 exec, exec, s[2:3]
	s_load_dwordx8 s[24:31], s[0:1], 0x0
	s_load_dwordx2 s[2:3], s[0:1], 0x20
	v_lshlrev_b64 v[2:3], 2, v[2:3]
	v_mul_lo_u32 v21, s12, v8
	v_mul_lo_u32 v8, v15, s10
	s_waitcnt lgkmcnt(0)
	v_lshl_add_u64 v[10:11], s[26:27], 0, v[2:3]
	v_lshl_add_u64 v[2:3], s[2:3], 0, v[2:3]
	global_load_dword v9, v[10:11], off
	global_load_dword v16, v[2:3], off
	v_mul_lo_u32 v17, v14, s11
	v_mad_u64_u32 v[22:23], s[0:1], v14, s10, 0
	v_add3_u32 v8, v23, v17, v8
	v_sub_co_u32_e32 v17, vcc, v6, v22
	v_ashrrev_i32_e32 v5, 31, v4
	s_nop 0
	v_subb_co_u32_e32 v8, vcc, v7, v8, vcc
	v_mul_lo_u32 v12, v4, s19
	v_mul_lo_u32 v13, v5, s18
	v_mad_u64_u32 v[10:11], s[0:1], v4, s18, 0
	v_mul_lo_u32 v22, v17, s9
	v_mul_lo_u32 v23, v8, s8
	v_mad_u64_u32 v[6:7], s[0:1], v17, s8, v[14:15]
	v_mov_b32_e32 v2, s28
	v_mov_b32_e32 v3, s29
	v_add3_u32 v11, v11, v12, v13
	v_add3_u32 v7, v23, v7, v22
	v_lshl_add_u64 v[2:3], v[10:11], 2, v[2:3]
	v_mul_lo_u32 v12, v15, s12
	v_mul_lo_u32 v13, v14, s13
	v_mad_u64_u32 v[10:11], s[0:1], v14, s12, 0
	v_mul_lo_u32 v14, v7, s12
	v_mul_lo_u32 v15, v6, s13
	v_mad_u64_u32 v[6:7], s[0:1], v6, s12, 0
	v_add3_u32 v7, v7, v15, v14
	v_mul_lo_u32 v14, v4, s21
	v_mul_lo_u32 v15, v5, s20
	v_mad_u64_u32 v[4:5], s[0:1], v4, s20, 0
	v_mov_b32_e32 v18, s30
	v_mov_b32_e32 v19, s31
	;; [unrolled: 1-line block ×3, first 2 shown]
	v_add3_u32 v5, v5, v14, v15
	v_add3_u32 v11, v11, v13, v12
	v_ashrrev_i64 v[20:21], 30, v[20:21]
	v_lshl_add_u64 v[4:5], v[4:5], 2, v[18:19]
	v_mul_lo_u32 v8, v8, s12
	v_mul_lo_u32 v18, v17, s13
	v_mad_u64_u32 v[14:15], s[0:1], v17, s12, 0
	s_mul_i32 s2, s4, s33
	v_lshl_add_u64 v[2:3], v[10:11], 2, v[2:3]
	v_lshlrev_b64 v[0:1], 2, v[0:1]
	v_lshl_add_u64 v[20:21], s[24:25], 0, v[20:21]
	v_add3_u32 v15, v15, v18, v8
	s_ashr_i32 s3, s2, 31
	v_lshl_add_u64 v[10:11], s[12:13], 2, v[2:3]
	v_lshl_add_u64 v[12:13], v[2:3], 0, v[0:1]
	;; [unrolled: 1-line block ×4, first 2 shown]
	s_lshl_b64 s[4:5], s[2:3], 2
	s_mov_b64 s[6:7], 0
.LBB39_11:                              ; =>This Inner Loop Header: Depth=1
	v_lshl_add_u64 v[18:19], v[2:3], 0, v[0:1]
	v_lshl_add_u64 v[14:15], v[4:5], 0, v[0:1]
	global_load_dword v8, v[18:19], off
	global_load_dword v17, v[14:15], off
	v_lshl_add_u64 v[12:13], s[2:3], 2, v[12:13]
	v_cmp_ge_u64_e32 vcc, v[12:13], v[10:11]
	v_lshl_add_u64 v[14:15], v[6:7], 0, v[0:1]
	v_lshl_add_u64 v[0:1], v[0:1], 0, s[4:5]
	s_or_b64 s[6:7], vcc, s[6:7]
	s_waitcnt vmcnt(0)
	v_sub_f32_e32 v8, v8, v17
	v_cmp_lt_f32_e64 s[0:1], 0, v8
	s_nop 1
	v_cndmask_b32_e64 v17, 0, 1, s[0:1]
	v_cmp_gt_f32_e64 s[0:1], 0, v8
	s_nop 1
	v_subbrev_co_u32_e64 v17, s[0:1], 0, v17, s[0:1]
	v_cvt_f32_i32_e32 v17, v17
	v_cmp_eq_f32_e64 s[0:1], |v8|, v16
	v_mul_f32_e32 v17, v9, v17
	s_nop 0
	v_cndmask_b32_e64 v8, 0, 1.0, s[0:1]
	v_mul_f32_e32 v8, v17, v8
	global_store_dword v[14:15], v8, off
	s_andn2_b64 exec, exec, s[6:7]
	s_cbranch_execnz .LBB39_11
.LBB39_12:
	s_endpgm
	.section	.rodata,"a",@progbits
	.p2align	6, 0x0
	.amdhsa_kernel _ZN2at6native12_GLOBAL__N_131cdist_backward_kernel_cuda_implIfNS1_5distsIfE3infEEEvPT_PKS6_S9_S9_S9_S6_lllllll
		.amdhsa_group_segment_fixed_size 0
		.amdhsa_private_segment_fixed_size 0
		.amdhsa_kernarg_size 360
		.amdhsa_user_sgpr_count 2
		.amdhsa_user_sgpr_dispatch_ptr 0
		.amdhsa_user_sgpr_queue_ptr 0
		.amdhsa_user_sgpr_kernarg_segment_ptr 1
		.amdhsa_user_sgpr_dispatch_id 0
		.amdhsa_user_sgpr_kernarg_preload_length 0
		.amdhsa_user_sgpr_kernarg_preload_offset 0
		.amdhsa_user_sgpr_private_segment_size 0
		.amdhsa_uses_dynamic_stack 0
		.amdhsa_enable_private_segment 0
		.amdhsa_system_sgpr_workgroup_id_x 1
		.amdhsa_system_sgpr_workgroup_id_y 1
		.amdhsa_system_sgpr_workgroup_id_z 1
		.amdhsa_system_sgpr_workgroup_info 0
		.amdhsa_system_vgpr_workitem_id 1
		.amdhsa_next_free_vgpr 24
		.amdhsa_next_free_sgpr 34
		.amdhsa_accum_offset 24
		.amdhsa_reserve_vcc 1
		.amdhsa_float_round_mode_32 0
		.amdhsa_float_round_mode_16_64 0
		.amdhsa_float_denorm_mode_32 3
		.amdhsa_float_denorm_mode_16_64 3
		.amdhsa_dx10_clamp 1
		.amdhsa_ieee_mode 1
		.amdhsa_fp16_overflow 0
		.amdhsa_tg_split 0
		.amdhsa_exception_fp_ieee_invalid_op 0
		.amdhsa_exception_fp_denorm_src 0
		.amdhsa_exception_fp_ieee_div_zero 0
		.amdhsa_exception_fp_ieee_overflow 0
		.amdhsa_exception_fp_ieee_underflow 0
		.amdhsa_exception_fp_ieee_inexact 0
		.amdhsa_exception_int_div_zero 0
	.end_amdhsa_kernel
	.section	.text._ZN2at6native12_GLOBAL__N_131cdist_backward_kernel_cuda_implIfNS1_5distsIfE3infEEEvPT_PKS6_S9_S9_S9_S6_lllllll,"axG",@progbits,_ZN2at6native12_GLOBAL__N_131cdist_backward_kernel_cuda_implIfNS1_5distsIfE3infEEEvPT_PKS6_S9_S9_S9_S6_lllllll,comdat
.Lfunc_end39:
	.size	_ZN2at6native12_GLOBAL__N_131cdist_backward_kernel_cuda_implIfNS1_5distsIfE3infEEEvPT_PKS6_S9_S9_S9_S6_lllllll, .Lfunc_end39-_ZN2at6native12_GLOBAL__N_131cdist_backward_kernel_cuda_implIfNS1_5distsIfE3infEEEvPT_PKS6_S9_S9_S9_S6_lllllll
                                        ; -- End function
	.set _ZN2at6native12_GLOBAL__N_131cdist_backward_kernel_cuda_implIfNS1_5distsIfE3infEEEvPT_PKS6_S9_S9_S9_S6_lllllll.num_vgpr, 24
	.set _ZN2at6native12_GLOBAL__N_131cdist_backward_kernel_cuda_implIfNS1_5distsIfE3infEEEvPT_PKS6_S9_S9_S9_S6_lllllll.num_agpr, 0
	.set _ZN2at6native12_GLOBAL__N_131cdist_backward_kernel_cuda_implIfNS1_5distsIfE3infEEEvPT_PKS6_S9_S9_S9_S6_lllllll.numbered_sgpr, 34
	.set _ZN2at6native12_GLOBAL__N_131cdist_backward_kernel_cuda_implIfNS1_5distsIfE3infEEEvPT_PKS6_S9_S9_S9_S6_lllllll.num_named_barrier, 0
	.set _ZN2at6native12_GLOBAL__N_131cdist_backward_kernel_cuda_implIfNS1_5distsIfE3infEEEvPT_PKS6_S9_S9_S9_S6_lllllll.private_seg_size, 0
	.set _ZN2at6native12_GLOBAL__N_131cdist_backward_kernel_cuda_implIfNS1_5distsIfE3infEEEvPT_PKS6_S9_S9_S9_S6_lllllll.uses_vcc, 1
	.set _ZN2at6native12_GLOBAL__N_131cdist_backward_kernel_cuda_implIfNS1_5distsIfE3infEEEvPT_PKS6_S9_S9_S9_S6_lllllll.uses_flat_scratch, 0
	.set _ZN2at6native12_GLOBAL__N_131cdist_backward_kernel_cuda_implIfNS1_5distsIfE3infEEEvPT_PKS6_S9_S9_S9_S6_lllllll.has_dyn_sized_stack, 0
	.set _ZN2at6native12_GLOBAL__N_131cdist_backward_kernel_cuda_implIfNS1_5distsIfE3infEEEvPT_PKS6_S9_S9_S9_S6_lllllll.has_recursion, 0
	.set _ZN2at6native12_GLOBAL__N_131cdist_backward_kernel_cuda_implIfNS1_5distsIfE3infEEEvPT_PKS6_S9_S9_S9_S6_lllllll.has_indirect_call, 0
	.section	.AMDGPU.csdata,"",@progbits
; Kernel info:
; codeLenInByte = 2344
; TotalNumSgprs: 40
; NumVgprs: 24
; NumAgprs: 0
; TotalNumVgprs: 24
; ScratchSize: 0
; MemoryBound: 0
; FloatMode: 240
; IeeeMode: 1
; LDSByteSize: 0 bytes/workgroup (compile time only)
; SGPRBlocks: 4
; VGPRBlocks: 2
; NumSGPRsForWavesPerEU: 40
; NumVGPRsForWavesPerEU: 24
; AccumOffset: 24
; Occupancy: 8
; WaveLimiterHint : 0
; COMPUTE_PGM_RSRC2:SCRATCH_EN: 0
; COMPUTE_PGM_RSRC2:USER_SGPR: 2
; COMPUTE_PGM_RSRC2:TRAP_HANDLER: 0
; COMPUTE_PGM_RSRC2:TGID_X_EN: 1
; COMPUTE_PGM_RSRC2:TGID_Y_EN: 1
; COMPUTE_PGM_RSRC2:TGID_Z_EN: 1
; COMPUTE_PGM_RSRC2:TIDIG_COMP_CNT: 1
; COMPUTE_PGM_RSRC3_GFX90A:ACCUM_OFFSET: 5
; COMPUTE_PGM_RSRC3_GFX90A:TG_SPLIT: 0
	.section	.AMDGPU.gpr_maximums,"",@progbits
	.set amdgpu.max_num_vgpr, 0
	.set amdgpu.max_num_agpr, 0
	.set amdgpu.max_num_sgpr, 0
	.section	.AMDGPU.csdata,"",@progbits
	.type	__hip_cuid_4ce98d6b1574a7f9,@object ; @__hip_cuid_4ce98d6b1574a7f9
	.section	.bss,"aw",@nobits
	.globl	__hip_cuid_4ce98d6b1574a7f9
__hip_cuid_4ce98d6b1574a7f9:
	.byte	0                               ; 0x0
	.size	__hip_cuid_4ce98d6b1574a7f9, 1

	.ident	"AMD clang version 22.0.0git (https://github.com/RadeonOpenCompute/llvm-project roc-7.2.4 26084 f58b06dce1f9c15707c5f808fd002e18c2accf7e)"
	.section	".note.GNU-stack","",@progbits
	.addrsig
	.addrsig_sym __hip_cuid_4ce98d6b1574a7f9
	.amdgpu_metadata
---
amdhsa.kernels:
  - .agpr_count:     0
    .args:
      - .address_space:  global
        .offset:         0
        .size:           8
        .value_kind:     global_buffer
      - .address_space:  global
        .offset:         8
        .size:           8
        .value_kind:     global_buffer
      - .address_space:  global
        .offset:         16
        .size:           8
        .value_kind:     global_buffer
      - .offset:         24
        .size:           8
        .value_kind:     by_value
      - .offset:         32
        .size:           8
        .value_kind:     by_value
      - .offset:         40
        .size:           8
        .value_kind:     by_value
      - .offset:         48
        .size:           8
        .value_kind:     by_value
      - .offset:         56
        .size:           8
        .value_kind:     by_value
      - .offset:         64
        .size:           8
        .value_kind:     by_value
      - .offset:         72
        .size:           4
        .value_kind:     hidden_block_count_x
      - .offset:         76
        .size:           4
        .value_kind:     hidden_block_count_y
      - .offset:         80
        .size:           4
        .value_kind:     hidden_block_count_z
      - .offset:         84
        .size:           2
        .value_kind:     hidden_group_size_x
      - .offset:         86
        .size:           2
        .value_kind:     hidden_group_size_y
      - .offset:         88
        .size:           2
        .value_kind:     hidden_group_size_z
      - .offset:         90
        .size:           2
        .value_kind:     hidden_remainder_x
      - .offset:         92
        .size:           2
        .value_kind:     hidden_remainder_y
      - .offset:         94
        .size:           2
        .value_kind:     hidden_remainder_z
      - .offset:         112
        .size:           8
        .value_kind:     hidden_global_offset_x
      - .offset:         120
        .size:           8
        .value_kind:     hidden_global_offset_y
      - .offset:         128
        .size:           8
        .value_kind:     hidden_global_offset_z
      - .offset:         136
        .size:           2
        .value_kind:     hidden_grid_dims
    .group_segment_fixed_size: 2048
    .kernarg_segment_align: 8
    .kernarg_segment_size: 328
    .language:       OpenCL C
    .language_version:
      - 2
      - 0
    .max_flat_workgroup_size: 1024
    .name:           _ZN2at6native12_GLOBAL__N_122cdist_kernel_cuda_implIdNS1_5distsIdE1pEEEvPT_PKS6_S9_S6_lllll
    .private_segment_fixed_size: 0
    .sgpr_count:     68
    .sgpr_spill_count: 0
    .symbol:         _ZN2at6native12_GLOBAL__N_122cdist_kernel_cuda_implIdNS1_5distsIdE1pEEEvPT_PKS6_S9_S6_lllll.kd
    .uniform_work_group_size: 1
    .uses_dynamic_stack: false
    .vgpr_count:     70
    .vgpr_spill_count: 0
    .wavefront_size: 64
  - .agpr_count:     0
    .args:
      - .address_space:  global
        .offset:         0
        .size:           8
        .value_kind:     global_buffer
      - .address_space:  global
        .offset:         8
        .size:           8
        .value_kind:     global_buffer
      - .address_space:  global
        .offset:         16
        .size:           8
        .value_kind:     global_buffer
      - .offset:         24
        .size:           8
        .value_kind:     by_value
      - .offset:         32
        .size:           8
        .value_kind:     by_value
      - .offset:         40
        .size:           8
        .value_kind:     by_value
      - .offset:         48
        .size:           8
        .value_kind:     by_value
      - .offset:         56
        .size:           8
        .value_kind:     by_value
      - .offset:         64
        .size:           8
        .value_kind:     by_value
      - .offset:         72
        .size:           4
        .value_kind:     hidden_block_count_x
      - .offset:         76
        .size:           4
        .value_kind:     hidden_block_count_y
      - .offset:         80
        .size:           4
        .value_kind:     hidden_block_count_z
      - .offset:         84
        .size:           2
        .value_kind:     hidden_group_size_x
      - .offset:         86
        .size:           2
        .value_kind:     hidden_group_size_y
      - .offset:         88
        .size:           2
        .value_kind:     hidden_group_size_z
      - .offset:         90
        .size:           2
        .value_kind:     hidden_remainder_x
      - .offset:         92
        .size:           2
        .value_kind:     hidden_remainder_y
      - .offset:         94
        .size:           2
        .value_kind:     hidden_remainder_z
      - .offset:         112
        .size:           8
        .value_kind:     hidden_global_offset_x
      - .offset:         120
        .size:           8
        .value_kind:     hidden_global_offset_y
      - .offset:         128
        .size:           8
        .value_kind:     hidden_global_offset_z
      - .offset:         136
        .size:           2
        .value_kind:     hidden_grid_dims
    .group_segment_fixed_size: 2048
    .kernarg_segment_align: 8
    .kernarg_segment_size: 328
    .language:       OpenCL C
    .language_version:
      - 2
      - 0
    .max_flat_workgroup_size: 1024
    .name:           _ZN2at6native12_GLOBAL__N_122cdist_kernel_cuda_implIdNS1_5distsIdE4zeroEEEvPT_PKS6_S9_S6_lllll
    .private_segment_fixed_size: 0
    .sgpr_count:     43
    .sgpr_spill_count: 0
    .symbol:         _ZN2at6native12_GLOBAL__N_122cdist_kernel_cuda_implIdNS1_5distsIdE4zeroEEEvPT_PKS6_S9_S6_lllll.kd
    .uniform_work_group_size: 1
    .uses_dynamic_stack: false
    .vgpr_count:     16
    .vgpr_spill_count: 0
    .wavefront_size: 64
  - .agpr_count:     0
    .args:
      - .address_space:  global
        .offset:         0
        .size:           8
        .value_kind:     global_buffer
      - .address_space:  global
        .offset:         8
        .size:           8
        .value_kind:     global_buffer
      - .address_space:  global
        .offset:         16
        .size:           8
        .value_kind:     global_buffer
      - .offset:         24
        .size:           8
        .value_kind:     by_value
      - .offset:         32
        .size:           8
        .value_kind:     by_value
      - .offset:         40
        .size:           8
        .value_kind:     by_value
      - .offset:         48
        .size:           8
        .value_kind:     by_value
      - .offset:         56
        .size:           8
        .value_kind:     by_value
      - .offset:         64
        .size:           8
        .value_kind:     by_value
      - .offset:         72
        .size:           4
        .value_kind:     hidden_block_count_x
      - .offset:         76
        .size:           4
        .value_kind:     hidden_block_count_y
      - .offset:         80
        .size:           4
        .value_kind:     hidden_block_count_z
      - .offset:         84
        .size:           2
        .value_kind:     hidden_group_size_x
      - .offset:         86
        .size:           2
        .value_kind:     hidden_group_size_y
      - .offset:         88
        .size:           2
        .value_kind:     hidden_group_size_z
      - .offset:         90
        .size:           2
        .value_kind:     hidden_remainder_x
      - .offset:         92
        .size:           2
        .value_kind:     hidden_remainder_y
      - .offset:         94
        .size:           2
        .value_kind:     hidden_remainder_z
      - .offset:         112
        .size:           8
        .value_kind:     hidden_global_offset_x
      - .offset:         120
        .size:           8
        .value_kind:     hidden_global_offset_y
      - .offset:         128
        .size:           8
        .value_kind:     hidden_global_offset_z
      - .offset:         136
        .size:           2
        .value_kind:     hidden_grid_dims
    .group_segment_fixed_size: 2048
    .kernarg_segment_align: 8
    .kernarg_segment_size: 328
    .language:       OpenCL C
    .language_version:
      - 2
      - 0
    .max_flat_workgroup_size: 1024
    .name:           _ZN2at6native12_GLOBAL__N_122cdist_kernel_cuda_implIdNS1_5distsIdE3oneEEEvPT_PKS6_S9_S6_lllll
    .private_segment_fixed_size: 0
    .sgpr_count:     43
    .sgpr_spill_count: 0
    .symbol:         _ZN2at6native12_GLOBAL__N_122cdist_kernel_cuda_implIdNS1_5distsIdE3oneEEEvPT_PKS6_S9_S6_lllll.kd
    .uniform_work_group_size: 1
    .uses_dynamic_stack: false
    .vgpr_count:     16
    .vgpr_spill_count: 0
    .wavefront_size: 64
  - .agpr_count:     0
    .args:
      - .address_space:  global
        .offset:         0
        .size:           8
        .value_kind:     global_buffer
      - .address_space:  global
        .offset:         8
        .size:           8
        .value_kind:     global_buffer
      - .address_space:  global
        .offset:         16
        .size:           8
        .value_kind:     global_buffer
      - .offset:         24
        .size:           8
        .value_kind:     by_value
      - .offset:         32
        .size:           8
        .value_kind:     by_value
      - .offset:         40
        .size:           8
        .value_kind:     by_value
      - .offset:         48
        .size:           8
        .value_kind:     by_value
      - .offset:         56
        .size:           8
        .value_kind:     by_value
      - .offset:         64
        .size:           8
        .value_kind:     by_value
      - .offset:         72
        .size:           4
        .value_kind:     hidden_block_count_x
      - .offset:         76
        .size:           4
        .value_kind:     hidden_block_count_y
      - .offset:         80
        .size:           4
        .value_kind:     hidden_block_count_z
      - .offset:         84
        .size:           2
        .value_kind:     hidden_group_size_x
      - .offset:         86
        .size:           2
        .value_kind:     hidden_group_size_y
      - .offset:         88
        .size:           2
        .value_kind:     hidden_group_size_z
      - .offset:         90
        .size:           2
        .value_kind:     hidden_remainder_x
      - .offset:         92
        .size:           2
        .value_kind:     hidden_remainder_y
      - .offset:         94
        .size:           2
        .value_kind:     hidden_remainder_z
      - .offset:         112
        .size:           8
        .value_kind:     hidden_global_offset_x
      - .offset:         120
        .size:           8
        .value_kind:     hidden_global_offset_y
      - .offset:         128
        .size:           8
        .value_kind:     hidden_global_offset_z
      - .offset:         136
        .size:           2
        .value_kind:     hidden_grid_dims
    .group_segment_fixed_size: 2048
    .kernarg_segment_align: 8
    .kernarg_segment_size: 328
    .language:       OpenCL C
    .language_version:
      - 2
      - 0
    .max_flat_workgroup_size: 1024
    .name:           _ZN2at6native12_GLOBAL__N_122cdist_kernel_cuda_implIdNS1_5distsIdE3twoEEEvPT_PKS6_S9_S6_lllll
    .private_segment_fixed_size: 0
    .sgpr_count:     43
    .sgpr_spill_count: 0
    .symbol:         _ZN2at6native12_GLOBAL__N_122cdist_kernel_cuda_implIdNS1_5distsIdE3twoEEEvPT_PKS6_S9_S6_lllll.kd
    .uniform_work_group_size: 1
    .uses_dynamic_stack: false
    .vgpr_count:     16
    .vgpr_spill_count: 0
    .wavefront_size: 64
  - .agpr_count:     0
    .args:
      - .address_space:  global
        .offset:         0
        .size:           8
        .value_kind:     global_buffer
      - .address_space:  global
        .offset:         8
        .size:           8
        .value_kind:     global_buffer
      - .address_space:  global
        .offset:         16
        .size:           8
        .value_kind:     global_buffer
      - .offset:         24
        .size:           8
        .value_kind:     by_value
      - .offset:         32
        .size:           8
        .value_kind:     by_value
      - .offset:         40
        .size:           8
        .value_kind:     by_value
      - .offset:         48
        .size:           8
        .value_kind:     by_value
      - .offset:         56
        .size:           8
        .value_kind:     by_value
      - .offset:         64
        .size:           8
        .value_kind:     by_value
      - .offset:         72
        .size:           4
        .value_kind:     hidden_block_count_x
      - .offset:         76
        .size:           4
        .value_kind:     hidden_block_count_y
      - .offset:         80
        .size:           4
        .value_kind:     hidden_block_count_z
      - .offset:         84
        .size:           2
        .value_kind:     hidden_group_size_x
      - .offset:         86
        .size:           2
        .value_kind:     hidden_group_size_y
      - .offset:         88
        .size:           2
        .value_kind:     hidden_group_size_z
      - .offset:         90
        .size:           2
        .value_kind:     hidden_remainder_x
      - .offset:         92
        .size:           2
        .value_kind:     hidden_remainder_y
      - .offset:         94
        .size:           2
        .value_kind:     hidden_remainder_z
      - .offset:         112
        .size:           8
        .value_kind:     hidden_global_offset_x
      - .offset:         120
        .size:           8
        .value_kind:     hidden_global_offset_y
      - .offset:         128
        .size:           8
        .value_kind:     hidden_global_offset_z
      - .offset:         136
        .size:           2
        .value_kind:     hidden_grid_dims
    .group_segment_fixed_size: 2048
    .kernarg_segment_align: 8
    .kernarg_segment_size: 328
    .language:       OpenCL C
    .language_version:
      - 2
      - 0
    .max_flat_workgroup_size: 1024
    .name:           _ZN2at6native12_GLOBAL__N_122cdist_kernel_cuda_implIdNS1_5distsIdE3infEEEvPT_PKS6_S9_S6_lllll
    .private_segment_fixed_size: 0
    .sgpr_count:     43
    .sgpr_spill_count: 0
    .symbol:         _ZN2at6native12_GLOBAL__N_122cdist_kernel_cuda_implIdNS1_5distsIdE3infEEEvPT_PKS6_S9_S6_lllll.kd
    .uniform_work_group_size: 1
    .uses_dynamic_stack: false
    .vgpr_count:     16
    .vgpr_spill_count: 0
    .wavefront_size: 64
  - .agpr_count:     0
    .args:
      - .address_space:  global
        .offset:         0
        .size:           8
        .value_kind:     global_buffer
      - .address_space:  global
        .offset:         8
        .size:           8
        .value_kind:     global_buffer
      - .address_space:  global
        .offset:         16
        .size:           8
        .value_kind:     global_buffer
      - .offset:         24
        .size:           4
        .value_kind:     by_value
      - .offset:         32
        .size:           8
        .value_kind:     by_value
      - .offset:         40
        .size:           8
        .value_kind:     by_value
      - .offset:         48
        .size:           8
        .value_kind:     by_value
      - .offset:         56
        .size:           8
        .value_kind:     by_value
      - .offset:         64
        .size:           8
        .value_kind:     by_value
      - .offset:         72
        .size:           4
        .value_kind:     hidden_block_count_x
      - .offset:         76
        .size:           4
        .value_kind:     hidden_block_count_y
      - .offset:         80
        .size:           4
        .value_kind:     hidden_block_count_z
      - .offset:         84
        .size:           2
        .value_kind:     hidden_group_size_x
      - .offset:         86
        .size:           2
        .value_kind:     hidden_group_size_y
      - .offset:         88
        .size:           2
        .value_kind:     hidden_group_size_z
      - .offset:         90
        .size:           2
        .value_kind:     hidden_remainder_x
      - .offset:         92
        .size:           2
        .value_kind:     hidden_remainder_y
      - .offset:         94
        .size:           2
        .value_kind:     hidden_remainder_z
      - .offset:         112
        .size:           8
        .value_kind:     hidden_global_offset_x
      - .offset:         120
        .size:           8
        .value_kind:     hidden_global_offset_y
      - .offset:         128
        .size:           8
        .value_kind:     hidden_global_offset_z
      - .offset:         136
        .size:           2
        .value_kind:     hidden_grid_dims
    .group_segment_fixed_size: 1024
    .kernarg_segment_align: 8
    .kernarg_segment_size: 328
    .language:       OpenCL C
    .language_version:
      - 2
      - 0
    .max_flat_workgroup_size: 1024
    .name:           _ZN2at6native12_GLOBAL__N_122cdist_kernel_cuda_implIfNS1_5distsIfE1pEEEvPT_PKS6_S9_S6_lllll
    .private_segment_fixed_size: 0
    .sgpr_count:     46
    .sgpr_spill_count: 0
    .symbol:         _ZN2at6native12_GLOBAL__N_122cdist_kernel_cuda_implIfNS1_5distsIfE1pEEEvPT_PKS6_S9_S6_lllll.kd
    .uniform_work_group_size: 1
    .uses_dynamic_stack: false
    .vgpr_count:     31
    .vgpr_spill_count: 0
    .wavefront_size: 64
  - .agpr_count:     0
    .args:
      - .address_space:  global
        .offset:         0
        .size:           8
        .value_kind:     global_buffer
      - .address_space:  global
        .offset:         8
        .size:           8
        .value_kind:     global_buffer
      - .address_space:  global
        .offset:         16
        .size:           8
        .value_kind:     global_buffer
      - .offset:         24
        .size:           4
        .value_kind:     by_value
      - .offset:         32
        .size:           8
        .value_kind:     by_value
      - .offset:         40
        .size:           8
        .value_kind:     by_value
      - .offset:         48
        .size:           8
        .value_kind:     by_value
      - .offset:         56
        .size:           8
        .value_kind:     by_value
      - .offset:         64
        .size:           8
        .value_kind:     by_value
      - .offset:         72
        .size:           4
        .value_kind:     hidden_block_count_x
      - .offset:         76
        .size:           4
        .value_kind:     hidden_block_count_y
      - .offset:         80
        .size:           4
        .value_kind:     hidden_block_count_z
      - .offset:         84
        .size:           2
        .value_kind:     hidden_group_size_x
      - .offset:         86
        .size:           2
        .value_kind:     hidden_group_size_y
      - .offset:         88
        .size:           2
        .value_kind:     hidden_group_size_z
      - .offset:         90
        .size:           2
        .value_kind:     hidden_remainder_x
      - .offset:         92
        .size:           2
        .value_kind:     hidden_remainder_y
      - .offset:         94
        .size:           2
        .value_kind:     hidden_remainder_z
      - .offset:         112
        .size:           8
        .value_kind:     hidden_global_offset_x
      - .offset:         120
        .size:           8
        .value_kind:     hidden_global_offset_y
      - .offset:         128
        .size:           8
        .value_kind:     hidden_global_offset_z
      - .offset:         136
        .size:           2
        .value_kind:     hidden_grid_dims
    .group_segment_fixed_size: 1024
    .kernarg_segment_align: 8
    .kernarg_segment_size: 328
    .language:       OpenCL C
    .language_version:
      - 2
      - 0
    .max_flat_workgroup_size: 1024
    .name:           _ZN2at6native12_GLOBAL__N_122cdist_kernel_cuda_implIfNS1_5distsIfE4zeroEEEvPT_PKS6_S9_S6_lllll
    .private_segment_fixed_size: 0
    .sgpr_count:     43
    .sgpr_spill_count: 0
    .symbol:         _ZN2at6native12_GLOBAL__N_122cdist_kernel_cuda_implIfNS1_5distsIfE4zeroEEEvPT_PKS6_S9_S6_lllll.kd
    .uniform_work_group_size: 1
    .uses_dynamic_stack: false
    .vgpr_count:     12
    .vgpr_spill_count: 0
    .wavefront_size: 64
  - .agpr_count:     0
    .args:
      - .address_space:  global
        .offset:         0
        .size:           8
        .value_kind:     global_buffer
      - .address_space:  global
        .offset:         8
        .size:           8
        .value_kind:     global_buffer
      - .address_space:  global
        .offset:         16
        .size:           8
        .value_kind:     global_buffer
      - .offset:         24
        .size:           4
        .value_kind:     by_value
      - .offset:         32
        .size:           8
        .value_kind:     by_value
      - .offset:         40
        .size:           8
        .value_kind:     by_value
      - .offset:         48
        .size:           8
        .value_kind:     by_value
      - .offset:         56
        .size:           8
        .value_kind:     by_value
      - .offset:         64
        .size:           8
        .value_kind:     by_value
      - .offset:         72
        .size:           4
        .value_kind:     hidden_block_count_x
      - .offset:         76
        .size:           4
        .value_kind:     hidden_block_count_y
      - .offset:         80
        .size:           4
        .value_kind:     hidden_block_count_z
      - .offset:         84
        .size:           2
        .value_kind:     hidden_group_size_x
      - .offset:         86
        .size:           2
        .value_kind:     hidden_group_size_y
      - .offset:         88
        .size:           2
        .value_kind:     hidden_group_size_z
      - .offset:         90
        .size:           2
        .value_kind:     hidden_remainder_x
      - .offset:         92
        .size:           2
        .value_kind:     hidden_remainder_y
      - .offset:         94
        .size:           2
        .value_kind:     hidden_remainder_z
      - .offset:         112
        .size:           8
        .value_kind:     hidden_global_offset_x
      - .offset:         120
        .size:           8
        .value_kind:     hidden_global_offset_y
      - .offset:         128
        .size:           8
        .value_kind:     hidden_global_offset_z
      - .offset:         136
        .size:           2
        .value_kind:     hidden_grid_dims
    .group_segment_fixed_size: 1024
    .kernarg_segment_align: 8
    .kernarg_segment_size: 328
    .language:       OpenCL C
    .language_version:
      - 2
      - 0
    .max_flat_workgroup_size: 1024
    .name:           _ZN2at6native12_GLOBAL__N_122cdist_kernel_cuda_implIfNS1_5distsIfE3oneEEEvPT_PKS6_S9_S6_lllll
    .private_segment_fixed_size: 0
    .sgpr_count:     43
    .sgpr_spill_count: 0
    .symbol:         _ZN2at6native12_GLOBAL__N_122cdist_kernel_cuda_implIfNS1_5distsIfE3oneEEEvPT_PKS6_S9_S6_lllll.kd
    .uniform_work_group_size: 1
    .uses_dynamic_stack: false
    .vgpr_count:     12
    .vgpr_spill_count: 0
    .wavefront_size: 64
  - .agpr_count:     0
    .args:
      - .address_space:  global
        .offset:         0
        .size:           8
        .value_kind:     global_buffer
      - .address_space:  global
        .offset:         8
        .size:           8
        .value_kind:     global_buffer
      - .address_space:  global
        .offset:         16
        .size:           8
        .value_kind:     global_buffer
      - .offset:         24
        .size:           4
        .value_kind:     by_value
      - .offset:         32
        .size:           8
        .value_kind:     by_value
      - .offset:         40
        .size:           8
        .value_kind:     by_value
      - .offset:         48
        .size:           8
        .value_kind:     by_value
      - .offset:         56
        .size:           8
        .value_kind:     by_value
      - .offset:         64
        .size:           8
        .value_kind:     by_value
      - .offset:         72
        .size:           4
        .value_kind:     hidden_block_count_x
      - .offset:         76
        .size:           4
        .value_kind:     hidden_block_count_y
      - .offset:         80
        .size:           4
        .value_kind:     hidden_block_count_z
      - .offset:         84
        .size:           2
        .value_kind:     hidden_group_size_x
      - .offset:         86
        .size:           2
        .value_kind:     hidden_group_size_y
      - .offset:         88
        .size:           2
        .value_kind:     hidden_group_size_z
      - .offset:         90
        .size:           2
        .value_kind:     hidden_remainder_x
      - .offset:         92
        .size:           2
        .value_kind:     hidden_remainder_y
      - .offset:         94
        .size:           2
        .value_kind:     hidden_remainder_z
      - .offset:         112
        .size:           8
        .value_kind:     hidden_global_offset_x
      - .offset:         120
        .size:           8
        .value_kind:     hidden_global_offset_y
      - .offset:         128
        .size:           8
        .value_kind:     hidden_global_offset_z
      - .offset:         136
        .size:           2
        .value_kind:     hidden_grid_dims
    .group_segment_fixed_size: 1024
    .kernarg_segment_align: 8
    .kernarg_segment_size: 328
    .language:       OpenCL C
    .language_version:
      - 2
      - 0
    .max_flat_workgroup_size: 1024
    .name:           _ZN2at6native12_GLOBAL__N_122cdist_kernel_cuda_implIfNS1_5distsIfE3twoEEEvPT_PKS6_S9_S6_lllll
    .private_segment_fixed_size: 0
    .sgpr_count:     43
    .sgpr_spill_count: 0
    .symbol:         _ZN2at6native12_GLOBAL__N_122cdist_kernel_cuda_implIfNS1_5distsIfE3twoEEEvPT_PKS6_S9_S6_lllll.kd
    .uniform_work_group_size: 1
    .uses_dynamic_stack: false
    .vgpr_count:     12
    .vgpr_spill_count: 0
    .wavefront_size: 64
  - .agpr_count:     0
    .args:
      - .address_space:  global
        .offset:         0
        .size:           8
        .value_kind:     global_buffer
      - .address_space:  global
        .offset:         8
        .size:           8
        .value_kind:     global_buffer
      - .address_space:  global
        .offset:         16
        .size:           8
        .value_kind:     global_buffer
      - .offset:         24
        .size:           4
        .value_kind:     by_value
      - .offset:         32
        .size:           8
        .value_kind:     by_value
      - .offset:         40
        .size:           8
        .value_kind:     by_value
      - .offset:         48
        .size:           8
        .value_kind:     by_value
      - .offset:         56
        .size:           8
        .value_kind:     by_value
      - .offset:         64
        .size:           8
        .value_kind:     by_value
      - .offset:         72
        .size:           4
        .value_kind:     hidden_block_count_x
      - .offset:         76
        .size:           4
        .value_kind:     hidden_block_count_y
      - .offset:         80
        .size:           4
        .value_kind:     hidden_block_count_z
      - .offset:         84
        .size:           2
        .value_kind:     hidden_group_size_x
      - .offset:         86
        .size:           2
        .value_kind:     hidden_group_size_y
      - .offset:         88
        .size:           2
        .value_kind:     hidden_group_size_z
      - .offset:         90
        .size:           2
        .value_kind:     hidden_remainder_x
      - .offset:         92
        .size:           2
        .value_kind:     hidden_remainder_y
      - .offset:         94
        .size:           2
        .value_kind:     hidden_remainder_z
      - .offset:         112
        .size:           8
        .value_kind:     hidden_global_offset_x
      - .offset:         120
        .size:           8
        .value_kind:     hidden_global_offset_y
      - .offset:         128
        .size:           8
        .value_kind:     hidden_global_offset_z
      - .offset:         136
        .size:           2
        .value_kind:     hidden_grid_dims
    .group_segment_fixed_size: 1024
    .kernarg_segment_align: 8
    .kernarg_segment_size: 328
    .language:       OpenCL C
    .language_version:
      - 2
      - 0
    .max_flat_workgroup_size: 1024
    .name:           _ZN2at6native12_GLOBAL__N_122cdist_kernel_cuda_implIfNS1_5distsIfE3infEEEvPT_PKS6_S9_S6_lllll
    .private_segment_fixed_size: 0
    .sgpr_count:     43
    .sgpr_spill_count: 0
    .symbol:         _ZN2at6native12_GLOBAL__N_122cdist_kernel_cuda_implIfNS1_5distsIfE3infEEEvPT_PKS6_S9_S6_lllll.kd
    .uniform_work_group_size: 1
    .uses_dynamic_stack: false
    .vgpr_count:     12
    .vgpr_spill_count: 0
    .wavefront_size: 64
  - .agpr_count:     0
    .args:
      - .address_space:  global
        .offset:         0
        .size:           8
        .value_kind:     global_buffer
      - .address_space:  global
        .offset:         8
        .size:           8
        .value_kind:     global_buffer
      - .offset:         16
        .size:           8
        .value_kind:     by_value
      - .offset:         24
        .size:           8
        .value_kind:     by_value
      - .offset:         32
        .size:           8
        .value_kind:     by_value
      - .offset:         40
        .size:           8
        .value_kind:     by_value
      - .offset:         48
        .size:           8
        .value_kind:     by_value
      - .offset:         56
        .size:           4
        .value_kind:     hidden_block_count_x
      - .offset:         60
        .size:           4
        .value_kind:     hidden_block_count_y
      - .offset:         64
        .size:           4
        .value_kind:     hidden_block_count_z
      - .offset:         68
        .size:           2
        .value_kind:     hidden_group_size_x
      - .offset:         70
        .size:           2
        .value_kind:     hidden_group_size_y
      - .offset:         72
        .size:           2
        .value_kind:     hidden_group_size_z
      - .offset:         74
        .size:           2
        .value_kind:     hidden_remainder_x
      - .offset:         76
        .size:           2
        .value_kind:     hidden_remainder_y
      - .offset:         78
        .size:           2
        .value_kind:     hidden_remainder_z
      - .offset:         96
        .size:           8
        .value_kind:     hidden_global_offset_x
      - .offset:         104
        .size:           8
        .value_kind:     hidden_global_offset_y
      - .offset:         112
        .size:           8
        .value_kind:     hidden_global_offset_z
      - .offset:         120
        .size:           2
        .value_kind:     hidden_grid_dims
    .group_segment_fixed_size: 2048
    .kernarg_segment_align: 8
    .kernarg_segment_size: 312
    .language:       OpenCL C
    .language_version:
      - 2
      - 0
    .max_flat_workgroup_size: 1024
    .name:           _ZN2at6native12_GLOBAL__N_122pdist_kernel_cuda_implIdNS1_5distsIdE1pEEEvPT_PKS6_llS6_dd
    .private_segment_fixed_size: 0
    .sgpr_count:     62
    .sgpr_spill_count: 0
    .symbol:         _ZN2at6native12_GLOBAL__N_122pdist_kernel_cuda_implIdNS1_5distsIdE1pEEEvPT_PKS6_llS6_dd.kd
    .uniform_work_group_size: 1
    .uses_dynamic_stack: false
    .vgpr_count:     72
    .vgpr_spill_count: 0
    .wavefront_size: 64
  - .agpr_count:     0
    .args:
      - .address_space:  global
        .offset:         0
        .size:           8
        .value_kind:     global_buffer
      - .address_space:  global
        .offset:         8
        .size:           8
        .value_kind:     global_buffer
      - .offset:         16
        .size:           8
        .value_kind:     by_value
      - .offset:         24
        .size:           8
        .value_kind:     by_value
      - .offset:         32
        .size:           8
        .value_kind:     by_value
      - .offset:         40
        .size:           8
        .value_kind:     by_value
      - .offset:         48
        .size:           8
        .value_kind:     by_value
      - .offset:         56
        .size:           4
        .value_kind:     hidden_block_count_x
      - .offset:         60
        .size:           4
        .value_kind:     hidden_block_count_y
      - .offset:         64
        .size:           4
        .value_kind:     hidden_block_count_z
      - .offset:         68
        .size:           2
        .value_kind:     hidden_group_size_x
      - .offset:         70
        .size:           2
        .value_kind:     hidden_group_size_y
      - .offset:         72
        .size:           2
        .value_kind:     hidden_group_size_z
      - .offset:         74
        .size:           2
        .value_kind:     hidden_remainder_x
      - .offset:         76
        .size:           2
        .value_kind:     hidden_remainder_y
      - .offset:         78
        .size:           2
        .value_kind:     hidden_remainder_z
      - .offset:         96
        .size:           8
        .value_kind:     hidden_global_offset_x
      - .offset:         104
        .size:           8
        .value_kind:     hidden_global_offset_y
      - .offset:         112
        .size:           8
        .value_kind:     hidden_global_offset_z
      - .offset:         120
        .size:           2
        .value_kind:     hidden_grid_dims
    .group_segment_fixed_size: 2048
    .kernarg_segment_align: 8
    .kernarg_segment_size: 312
    .language:       OpenCL C
    .language_version:
      - 2
      - 0
    .max_flat_workgroup_size: 1024
    .name:           _ZN2at6native12_GLOBAL__N_122pdist_kernel_cuda_implIdNS1_5distsIdE4zeroEEEvPT_PKS6_llS6_dd
    .private_segment_fixed_size: 0
    .sgpr_count:     30
    .sgpr_spill_count: 0
    .symbol:         _ZN2at6native12_GLOBAL__N_122pdist_kernel_cuda_implIdNS1_5distsIdE4zeroEEEvPT_PKS6_llS6_dd.kd
    .uniform_work_group_size: 1
    .uses_dynamic_stack: false
    .vgpr_count:     20
    .vgpr_spill_count: 0
    .wavefront_size: 64
  - .agpr_count:     0
    .args:
      - .address_space:  global
        .offset:         0
        .size:           8
        .value_kind:     global_buffer
      - .address_space:  global
        .offset:         8
        .size:           8
        .value_kind:     global_buffer
      - .offset:         16
        .size:           8
        .value_kind:     by_value
      - .offset:         24
        .size:           8
        .value_kind:     by_value
      - .offset:         32
        .size:           8
        .value_kind:     by_value
      - .offset:         40
        .size:           8
        .value_kind:     by_value
      - .offset:         48
        .size:           8
        .value_kind:     by_value
      - .offset:         56
        .size:           4
        .value_kind:     hidden_block_count_x
      - .offset:         60
        .size:           4
        .value_kind:     hidden_block_count_y
      - .offset:         64
        .size:           4
        .value_kind:     hidden_block_count_z
      - .offset:         68
        .size:           2
        .value_kind:     hidden_group_size_x
      - .offset:         70
        .size:           2
        .value_kind:     hidden_group_size_y
      - .offset:         72
        .size:           2
        .value_kind:     hidden_group_size_z
      - .offset:         74
        .size:           2
        .value_kind:     hidden_remainder_x
      - .offset:         76
        .size:           2
        .value_kind:     hidden_remainder_y
      - .offset:         78
        .size:           2
        .value_kind:     hidden_remainder_z
      - .offset:         96
        .size:           8
        .value_kind:     hidden_global_offset_x
      - .offset:         104
        .size:           8
        .value_kind:     hidden_global_offset_y
      - .offset:         112
        .size:           8
        .value_kind:     hidden_global_offset_z
      - .offset:         120
        .size:           2
        .value_kind:     hidden_grid_dims
    .group_segment_fixed_size: 2048
    .kernarg_segment_align: 8
    .kernarg_segment_size: 312
    .language:       OpenCL C
    .language_version:
      - 2
      - 0
    .max_flat_workgroup_size: 1024
    .name:           _ZN2at6native12_GLOBAL__N_122pdist_kernel_cuda_implIdNS1_5distsIdE3oneEEEvPT_PKS6_llS6_dd
    .private_segment_fixed_size: 0
    .sgpr_count:     27
    .sgpr_spill_count: 0
    .symbol:         _ZN2at6native12_GLOBAL__N_122pdist_kernel_cuda_implIdNS1_5distsIdE3oneEEEvPT_PKS6_llS6_dd.kd
    .uniform_work_group_size: 1
    .uses_dynamic_stack: false
    .vgpr_count:     20
    .vgpr_spill_count: 0
    .wavefront_size: 64
  - .agpr_count:     0
    .args:
      - .address_space:  global
        .offset:         0
        .size:           8
        .value_kind:     global_buffer
      - .address_space:  global
        .offset:         8
        .size:           8
        .value_kind:     global_buffer
      - .offset:         16
        .size:           8
        .value_kind:     by_value
      - .offset:         24
        .size:           8
        .value_kind:     by_value
      - .offset:         32
        .size:           8
        .value_kind:     by_value
      - .offset:         40
        .size:           8
        .value_kind:     by_value
      - .offset:         48
        .size:           8
        .value_kind:     by_value
      - .offset:         56
        .size:           4
        .value_kind:     hidden_block_count_x
      - .offset:         60
        .size:           4
        .value_kind:     hidden_block_count_y
      - .offset:         64
        .size:           4
        .value_kind:     hidden_block_count_z
      - .offset:         68
        .size:           2
        .value_kind:     hidden_group_size_x
      - .offset:         70
        .size:           2
        .value_kind:     hidden_group_size_y
      - .offset:         72
        .size:           2
        .value_kind:     hidden_group_size_z
      - .offset:         74
        .size:           2
        .value_kind:     hidden_remainder_x
      - .offset:         76
        .size:           2
        .value_kind:     hidden_remainder_y
      - .offset:         78
        .size:           2
        .value_kind:     hidden_remainder_z
      - .offset:         96
        .size:           8
        .value_kind:     hidden_global_offset_x
      - .offset:         104
        .size:           8
        .value_kind:     hidden_global_offset_y
      - .offset:         112
        .size:           8
        .value_kind:     hidden_global_offset_z
      - .offset:         120
        .size:           2
        .value_kind:     hidden_grid_dims
    .group_segment_fixed_size: 2048
    .kernarg_segment_align: 8
    .kernarg_segment_size: 312
    .language:       OpenCL C
    .language_version:
      - 2
      - 0
    .max_flat_workgroup_size: 1024
    .name:           _ZN2at6native12_GLOBAL__N_122pdist_kernel_cuda_implIdNS1_5distsIdE3twoEEEvPT_PKS6_llS6_dd
    .private_segment_fixed_size: 0
    .sgpr_count:     27
    .sgpr_spill_count: 0
    .symbol:         _ZN2at6native12_GLOBAL__N_122pdist_kernel_cuda_implIdNS1_5distsIdE3twoEEEvPT_PKS6_llS6_dd.kd
    .uniform_work_group_size: 1
    .uses_dynamic_stack: false
    .vgpr_count:     20
    .vgpr_spill_count: 0
    .wavefront_size: 64
  - .agpr_count:     0
    .args:
      - .address_space:  global
        .offset:         0
        .size:           8
        .value_kind:     global_buffer
      - .address_space:  global
        .offset:         8
        .size:           8
        .value_kind:     global_buffer
      - .offset:         16
        .size:           8
        .value_kind:     by_value
      - .offset:         24
        .size:           8
        .value_kind:     by_value
      - .offset:         32
        .size:           8
        .value_kind:     by_value
      - .offset:         40
        .size:           8
        .value_kind:     by_value
      - .offset:         48
        .size:           8
        .value_kind:     by_value
      - .offset:         56
        .size:           4
        .value_kind:     hidden_block_count_x
      - .offset:         60
        .size:           4
        .value_kind:     hidden_block_count_y
      - .offset:         64
        .size:           4
        .value_kind:     hidden_block_count_z
      - .offset:         68
        .size:           2
        .value_kind:     hidden_group_size_x
      - .offset:         70
        .size:           2
        .value_kind:     hidden_group_size_y
      - .offset:         72
        .size:           2
        .value_kind:     hidden_group_size_z
      - .offset:         74
        .size:           2
        .value_kind:     hidden_remainder_x
      - .offset:         76
        .size:           2
        .value_kind:     hidden_remainder_y
      - .offset:         78
        .size:           2
        .value_kind:     hidden_remainder_z
      - .offset:         96
        .size:           8
        .value_kind:     hidden_global_offset_x
      - .offset:         104
        .size:           8
        .value_kind:     hidden_global_offset_y
      - .offset:         112
        .size:           8
        .value_kind:     hidden_global_offset_z
      - .offset:         120
        .size:           2
        .value_kind:     hidden_grid_dims
    .group_segment_fixed_size: 2048
    .kernarg_segment_align: 8
    .kernarg_segment_size: 312
    .language:       OpenCL C
    .language_version:
      - 2
      - 0
    .max_flat_workgroup_size: 1024
    .name:           _ZN2at6native12_GLOBAL__N_122pdist_kernel_cuda_implIdNS1_5distsIdE3infEEEvPT_PKS6_llS6_dd
    .private_segment_fixed_size: 0
    .sgpr_count:     27
    .sgpr_spill_count: 0
    .symbol:         _ZN2at6native12_GLOBAL__N_122pdist_kernel_cuda_implIdNS1_5distsIdE3infEEEvPT_PKS6_llS6_dd.kd
    .uniform_work_group_size: 1
    .uses_dynamic_stack: false
    .vgpr_count:     20
    .vgpr_spill_count: 0
    .wavefront_size: 64
  - .agpr_count:     0
    .args:
      - .address_space:  global
        .offset:         0
        .size:           8
        .value_kind:     global_buffer
      - .address_space:  global
        .offset:         8
        .size:           8
        .value_kind:     global_buffer
      - .offset:         16
        .size:           8
        .value_kind:     by_value
      - .offset:         24
        .size:           8
        .value_kind:     by_value
      - .offset:         32
        .size:           4
        .value_kind:     by_value
      - .offset:         40
        .size:           8
        .value_kind:     by_value
      - .offset:         48
        .size:           8
        .value_kind:     by_value
      - .offset:         56
        .size:           4
        .value_kind:     hidden_block_count_x
      - .offset:         60
        .size:           4
        .value_kind:     hidden_block_count_y
      - .offset:         64
        .size:           4
        .value_kind:     hidden_block_count_z
      - .offset:         68
        .size:           2
        .value_kind:     hidden_group_size_x
      - .offset:         70
        .size:           2
        .value_kind:     hidden_group_size_y
      - .offset:         72
        .size:           2
        .value_kind:     hidden_group_size_z
      - .offset:         74
        .size:           2
        .value_kind:     hidden_remainder_x
      - .offset:         76
        .size:           2
        .value_kind:     hidden_remainder_y
      - .offset:         78
        .size:           2
        .value_kind:     hidden_remainder_z
      - .offset:         96
        .size:           8
        .value_kind:     hidden_global_offset_x
      - .offset:         104
        .size:           8
        .value_kind:     hidden_global_offset_y
      - .offset:         112
        .size:           8
        .value_kind:     hidden_global_offset_z
      - .offset:         120
        .size:           2
        .value_kind:     hidden_grid_dims
    .group_segment_fixed_size: 1024
    .kernarg_segment_align: 8
    .kernarg_segment_size: 312
    .language:       OpenCL C
    .language_version:
      - 2
      - 0
    .max_flat_workgroup_size: 1024
    .name:           _ZN2at6native12_GLOBAL__N_122pdist_kernel_cuda_implIfNS1_5distsIfE1pEEEvPT_PKS6_llS6_dd
    .private_segment_fixed_size: 0
    .sgpr_count:     42
    .sgpr_spill_count: 0
    .symbol:         _ZN2at6native12_GLOBAL__N_122pdist_kernel_cuda_implIfNS1_5distsIfE1pEEEvPT_PKS6_llS6_dd.kd
    .uniform_work_group_size: 1
    .uses_dynamic_stack: false
    .vgpr_count:     35
    .vgpr_spill_count: 0
    .wavefront_size: 64
  - .agpr_count:     0
    .args:
      - .address_space:  global
        .offset:         0
        .size:           8
        .value_kind:     global_buffer
      - .address_space:  global
        .offset:         8
        .size:           8
        .value_kind:     global_buffer
      - .offset:         16
        .size:           8
        .value_kind:     by_value
      - .offset:         24
        .size:           8
        .value_kind:     by_value
      - .offset:         32
        .size:           4
        .value_kind:     by_value
      - .offset:         40
        .size:           8
        .value_kind:     by_value
      - .offset:         48
        .size:           8
        .value_kind:     by_value
      - .offset:         56
        .size:           4
        .value_kind:     hidden_block_count_x
      - .offset:         60
        .size:           4
        .value_kind:     hidden_block_count_y
      - .offset:         64
        .size:           4
        .value_kind:     hidden_block_count_z
      - .offset:         68
        .size:           2
        .value_kind:     hidden_group_size_x
      - .offset:         70
        .size:           2
        .value_kind:     hidden_group_size_y
      - .offset:         72
        .size:           2
        .value_kind:     hidden_group_size_z
      - .offset:         74
        .size:           2
        .value_kind:     hidden_remainder_x
      - .offset:         76
        .size:           2
        .value_kind:     hidden_remainder_y
      - .offset:         78
        .size:           2
        .value_kind:     hidden_remainder_z
      - .offset:         96
        .size:           8
        .value_kind:     hidden_global_offset_x
      - .offset:         104
        .size:           8
        .value_kind:     hidden_global_offset_y
      - .offset:         112
        .size:           8
        .value_kind:     hidden_global_offset_z
      - .offset:         120
        .size:           2
        .value_kind:     hidden_grid_dims
    .group_segment_fixed_size: 1024
    .kernarg_segment_align: 8
    .kernarg_segment_size: 312
    .language:       OpenCL C
    .language_version:
      - 2
      - 0
    .max_flat_workgroup_size: 1024
    .name:           _ZN2at6native12_GLOBAL__N_122pdist_kernel_cuda_implIfNS1_5distsIfE4zeroEEEvPT_PKS6_llS6_dd
    .private_segment_fixed_size: 0
    .sgpr_count:     30
    .sgpr_spill_count: 0
    .symbol:         _ZN2at6native12_GLOBAL__N_122pdist_kernel_cuda_implIfNS1_5distsIfE4zeroEEEvPT_PKS6_llS6_dd.kd
    .uniform_work_group_size: 1
    .uses_dynamic_stack: false
    .vgpr_count:     16
    .vgpr_spill_count: 0
    .wavefront_size: 64
  - .agpr_count:     0
    .args:
      - .address_space:  global
        .offset:         0
        .size:           8
        .value_kind:     global_buffer
      - .address_space:  global
        .offset:         8
        .size:           8
        .value_kind:     global_buffer
      - .offset:         16
        .size:           8
        .value_kind:     by_value
      - .offset:         24
        .size:           8
        .value_kind:     by_value
      - .offset:         32
        .size:           4
        .value_kind:     by_value
      - .offset:         40
        .size:           8
        .value_kind:     by_value
      - .offset:         48
        .size:           8
        .value_kind:     by_value
      - .offset:         56
        .size:           4
        .value_kind:     hidden_block_count_x
      - .offset:         60
        .size:           4
        .value_kind:     hidden_block_count_y
      - .offset:         64
        .size:           4
        .value_kind:     hidden_block_count_z
      - .offset:         68
        .size:           2
        .value_kind:     hidden_group_size_x
      - .offset:         70
        .size:           2
        .value_kind:     hidden_group_size_y
      - .offset:         72
        .size:           2
        .value_kind:     hidden_group_size_z
      - .offset:         74
        .size:           2
        .value_kind:     hidden_remainder_x
      - .offset:         76
        .size:           2
        .value_kind:     hidden_remainder_y
      - .offset:         78
        .size:           2
        .value_kind:     hidden_remainder_z
      - .offset:         96
        .size:           8
        .value_kind:     hidden_global_offset_x
      - .offset:         104
        .size:           8
        .value_kind:     hidden_global_offset_y
      - .offset:         112
        .size:           8
        .value_kind:     hidden_global_offset_z
      - .offset:         120
        .size:           2
        .value_kind:     hidden_grid_dims
    .group_segment_fixed_size: 1024
    .kernarg_segment_align: 8
    .kernarg_segment_size: 312
    .language:       OpenCL C
    .language_version:
      - 2
      - 0
    .max_flat_workgroup_size: 1024
    .name:           _ZN2at6native12_GLOBAL__N_122pdist_kernel_cuda_implIfNS1_5distsIfE3oneEEEvPT_PKS6_llS6_dd
    .private_segment_fixed_size: 0
    .sgpr_count:     27
    .sgpr_spill_count: 0
    .symbol:         _ZN2at6native12_GLOBAL__N_122pdist_kernel_cuda_implIfNS1_5distsIfE3oneEEEvPT_PKS6_llS6_dd.kd
    .uniform_work_group_size: 1
    .uses_dynamic_stack: false
    .vgpr_count:     16
    .vgpr_spill_count: 0
    .wavefront_size: 64
  - .agpr_count:     0
    .args:
      - .address_space:  global
        .offset:         0
        .size:           8
        .value_kind:     global_buffer
      - .address_space:  global
        .offset:         8
        .size:           8
        .value_kind:     global_buffer
      - .offset:         16
        .size:           8
        .value_kind:     by_value
      - .offset:         24
        .size:           8
        .value_kind:     by_value
      - .offset:         32
        .size:           4
        .value_kind:     by_value
      - .offset:         40
        .size:           8
        .value_kind:     by_value
      - .offset:         48
        .size:           8
        .value_kind:     by_value
      - .offset:         56
        .size:           4
        .value_kind:     hidden_block_count_x
      - .offset:         60
        .size:           4
        .value_kind:     hidden_block_count_y
      - .offset:         64
        .size:           4
        .value_kind:     hidden_block_count_z
      - .offset:         68
        .size:           2
        .value_kind:     hidden_group_size_x
      - .offset:         70
        .size:           2
        .value_kind:     hidden_group_size_y
      - .offset:         72
        .size:           2
        .value_kind:     hidden_group_size_z
      - .offset:         74
        .size:           2
        .value_kind:     hidden_remainder_x
      - .offset:         76
        .size:           2
        .value_kind:     hidden_remainder_y
      - .offset:         78
        .size:           2
        .value_kind:     hidden_remainder_z
      - .offset:         96
        .size:           8
        .value_kind:     hidden_global_offset_x
      - .offset:         104
        .size:           8
        .value_kind:     hidden_global_offset_y
      - .offset:         112
        .size:           8
        .value_kind:     hidden_global_offset_z
      - .offset:         120
        .size:           2
        .value_kind:     hidden_grid_dims
    .group_segment_fixed_size: 1024
    .kernarg_segment_align: 8
    .kernarg_segment_size: 312
    .language:       OpenCL C
    .language_version:
      - 2
      - 0
    .max_flat_workgroup_size: 1024
    .name:           _ZN2at6native12_GLOBAL__N_122pdist_kernel_cuda_implIfNS1_5distsIfE3twoEEEvPT_PKS6_llS6_dd
    .private_segment_fixed_size: 0
    .sgpr_count:     27
    .sgpr_spill_count: 0
    .symbol:         _ZN2at6native12_GLOBAL__N_122pdist_kernel_cuda_implIfNS1_5distsIfE3twoEEEvPT_PKS6_llS6_dd.kd
    .uniform_work_group_size: 1
    .uses_dynamic_stack: false
    .vgpr_count:     16
    .vgpr_spill_count: 0
    .wavefront_size: 64
  - .agpr_count:     0
    .args:
      - .address_space:  global
        .offset:         0
        .size:           8
        .value_kind:     global_buffer
      - .address_space:  global
        .offset:         8
        .size:           8
        .value_kind:     global_buffer
      - .offset:         16
        .size:           8
        .value_kind:     by_value
      - .offset:         24
        .size:           8
        .value_kind:     by_value
      - .offset:         32
        .size:           4
        .value_kind:     by_value
      - .offset:         40
        .size:           8
        .value_kind:     by_value
      - .offset:         48
        .size:           8
        .value_kind:     by_value
      - .offset:         56
        .size:           4
        .value_kind:     hidden_block_count_x
      - .offset:         60
        .size:           4
        .value_kind:     hidden_block_count_y
      - .offset:         64
        .size:           4
        .value_kind:     hidden_block_count_z
      - .offset:         68
        .size:           2
        .value_kind:     hidden_group_size_x
      - .offset:         70
        .size:           2
        .value_kind:     hidden_group_size_y
      - .offset:         72
        .size:           2
        .value_kind:     hidden_group_size_z
      - .offset:         74
        .size:           2
        .value_kind:     hidden_remainder_x
      - .offset:         76
        .size:           2
        .value_kind:     hidden_remainder_y
      - .offset:         78
        .size:           2
        .value_kind:     hidden_remainder_z
      - .offset:         96
        .size:           8
        .value_kind:     hidden_global_offset_x
      - .offset:         104
        .size:           8
        .value_kind:     hidden_global_offset_y
      - .offset:         112
        .size:           8
        .value_kind:     hidden_global_offset_z
      - .offset:         120
        .size:           2
        .value_kind:     hidden_grid_dims
    .group_segment_fixed_size: 1024
    .kernarg_segment_align: 8
    .kernarg_segment_size: 312
    .language:       OpenCL C
    .language_version:
      - 2
      - 0
    .max_flat_workgroup_size: 1024
    .name:           _ZN2at6native12_GLOBAL__N_122pdist_kernel_cuda_implIfNS1_5distsIfE3infEEEvPT_PKS6_llS6_dd
    .private_segment_fixed_size: 0
    .sgpr_count:     27
    .sgpr_spill_count: 0
    .symbol:         _ZN2at6native12_GLOBAL__N_122pdist_kernel_cuda_implIfNS1_5distsIfE3infEEEvPT_PKS6_llS6_dd.kd
    .uniform_work_group_size: 1
    .uses_dynamic_stack: false
    .vgpr_count:     16
    .vgpr_spill_count: 0
    .wavefront_size: 64
  - .agpr_count:     0
    .args:
      - .address_space:  global
        .offset:         0
        .size:           8
        .value_kind:     global_buffer
      - .address_space:  global
        .offset:         8
        .size:           8
        .value_kind:     global_buffer
      - .address_space:  global
        .offset:         16
        .size:           8
        .value_kind:     global_buffer
      - .address_space:  global
        .offset:         24
        .size:           8
        .value_kind:     global_buffer
      - .offset:         32
        .size:           8
        .value_kind:     by_value
      - .offset:         40
        .size:           8
        .value_kind:     by_value
      - .offset:         48
        .size:           8
        .value_kind:     by_value
      - .offset:         56
        .size:           8
        .value_kind:     by_value
      - .offset:         64
        .size:           8
        .value_kind:     by_value
      - .offset:         72
        .size:           8
        .value_kind:     by_value
      - .offset:         80
        .size:           8
        .value_kind:     by_value
      - .offset:         88
        .size:           4
        .value_kind:     hidden_block_count_x
      - .offset:         92
        .size:           4
        .value_kind:     hidden_block_count_y
      - .offset:         96
        .size:           4
        .value_kind:     hidden_block_count_z
      - .offset:         100
        .size:           2
        .value_kind:     hidden_group_size_x
      - .offset:         102
        .size:           2
        .value_kind:     hidden_group_size_y
      - .offset:         104
        .size:           2
        .value_kind:     hidden_group_size_z
      - .offset:         106
        .size:           2
        .value_kind:     hidden_remainder_x
      - .offset:         108
        .size:           2
        .value_kind:     hidden_remainder_y
      - .offset:         110
        .size:           2
        .value_kind:     hidden_remainder_z
      - .offset:         128
        .size:           8
        .value_kind:     hidden_global_offset_x
      - .offset:         136
        .size:           8
        .value_kind:     hidden_global_offset_y
      - .offset:         144
        .size:           8
        .value_kind:     hidden_global_offset_z
      - .offset:         152
        .size:           2
        .value_kind:     hidden_grid_dims
    .group_segment_fixed_size: 0
    .kernarg_segment_align: 8
    .kernarg_segment_size: 344
    .language:       OpenCL C
    .language_version:
      - 2
      - 0
    .max_flat_workgroup_size: 1024
    .name:           _ZN2at6native12_GLOBAL__N_131pdist_backward_kernel_cuda_implIdNS1_5distsIdE1pEEEvPT_PKS6_S9_S9_llllS6_dd
    .private_segment_fixed_size: 0
    .sgpr_count:     51
    .sgpr_spill_count: 0
    .symbol:         _ZN2at6native12_GLOBAL__N_131pdist_backward_kernel_cuda_implIdNS1_5distsIdE1pEEEvPT_PKS6_S9_S9_llllS6_dd.kd
    .uniform_work_group_size: 1
    .uses_dynamic_stack: false
    .vgpr_count:     82
    .vgpr_spill_count: 0
    .wavefront_size: 64
  - .agpr_count:     0
    .args:
      - .address_space:  global
        .offset:         0
        .size:           8
        .value_kind:     global_buffer
      - .address_space:  global
        .offset:         8
        .size:           8
        .value_kind:     global_buffer
      - .address_space:  global
        .offset:         16
        .size:           8
        .value_kind:     global_buffer
      - .address_space:  global
        .offset:         24
        .size:           8
        .value_kind:     global_buffer
      - .offset:         32
        .size:           8
        .value_kind:     by_value
      - .offset:         40
        .size:           8
        .value_kind:     by_value
      - .offset:         48
        .size:           8
        .value_kind:     by_value
      - .offset:         56
        .size:           8
        .value_kind:     by_value
      - .offset:         64
        .size:           8
        .value_kind:     by_value
      - .offset:         72
        .size:           8
        .value_kind:     by_value
      - .offset:         80
        .size:           8
        .value_kind:     by_value
      - .offset:         88
        .size:           4
        .value_kind:     hidden_block_count_x
      - .offset:         92
        .size:           4
        .value_kind:     hidden_block_count_y
      - .offset:         96
        .size:           4
        .value_kind:     hidden_block_count_z
      - .offset:         100
        .size:           2
        .value_kind:     hidden_group_size_x
      - .offset:         102
        .size:           2
        .value_kind:     hidden_group_size_y
      - .offset:         104
        .size:           2
        .value_kind:     hidden_group_size_z
      - .offset:         106
        .size:           2
        .value_kind:     hidden_remainder_x
      - .offset:         108
        .size:           2
        .value_kind:     hidden_remainder_y
      - .offset:         110
        .size:           2
        .value_kind:     hidden_remainder_z
      - .offset:         128
        .size:           8
        .value_kind:     hidden_global_offset_x
      - .offset:         136
        .size:           8
        .value_kind:     hidden_global_offset_y
      - .offset:         144
        .size:           8
        .value_kind:     hidden_global_offset_z
      - .offset:         152
        .size:           2
        .value_kind:     hidden_grid_dims
    .group_segment_fixed_size: 0
    .kernarg_segment_align: 8
    .kernarg_segment_size: 344
    .language:       OpenCL C
    .language_version:
      - 2
      - 0
    .max_flat_workgroup_size: 1024
    .name:           _ZN2at6native12_GLOBAL__N_131pdist_backward_kernel_cuda_implIdNS1_5distsIdE3oneEEEvPT_PKS6_S9_S9_llllS6_dd
    .private_segment_fixed_size: 0
    .sgpr_count:     28
    .sgpr_spill_count: 0
    .symbol:         _ZN2at6native12_GLOBAL__N_131pdist_backward_kernel_cuda_implIdNS1_5distsIdE3oneEEEvPT_PKS6_S9_S9_llllS6_dd.kd
    .uniform_work_group_size: 1
    .uses_dynamic_stack: false
    .vgpr_count:     24
    .vgpr_spill_count: 0
    .wavefront_size: 64
  - .agpr_count:     0
    .args:
      - .address_space:  global
        .offset:         0
        .size:           8
        .value_kind:     global_buffer
      - .address_space:  global
        .offset:         8
        .size:           8
        .value_kind:     global_buffer
      - .address_space:  global
        .offset:         16
        .size:           8
        .value_kind:     global_buffer
      - .address_space:  global
        .offset:         24
        .size:           8
        .value_kind:     global_buffer
      - .offset:         32
        .size:           8
        .value_kind:     by_value
      - .offset:         40
        .size:           8
        .value_kind:     by_value
      - .offset:         48
        .size:           8
        .value_kind:     by_value
      - .offset:         56
        .size:           8
        .value_kind:     by_value
      - .offset:         64
        .size:           8
        .value_kind:     by_value
      - .offset:         72
        .size:           8
        .value_kind:     by_value
      - .offset:         80
        .size:           8
        .value_kind:     by_value
      - .offset:         88
        .size:           4
        .value_kind:     hidden_block_count_x
      - .offset:         92
        .size:           4
        .value_kind:     hidden_block_count_y
      - .offset:         96
        .size:           4
        .value_kind:     hidden_block_count_z
      - .offset:         100
        .size:           2
        .value_kind:     hidden_group_size_x
      - .offset:         102
        .size:           2
        .value_kind:     hidden_group_size_y
      - .offset:         104
        .size:           2
        .value_kind:     hidden_group_size_z
      - .offset:         106
        .size:           2
        .value_kind:     hidden_remainder_x
      - .offset:         108
        .size:           2
        .value_kind:     hidden_remainder_y
      - .offset:         110
        .size:           2
        .value_kind:     hidden_remainder_z
      - .offset:         128
        .size:           8
        .value_kind:     hidden_global_offset_x
      - .offset:         136
        .size:           8
        .value_kind:     hidden_global_offset_y
      - .offset:         144
        .size:           8
        .value_kind:     hidden_global_offset_z
      - .offset:         152
        .size:           2
        .value_kind:     hidden_grid_dims
    .group_segment_fixed_size: 0
    .kernarg_segment_align: 8
    .kernarg_segment_size: 344
    .language:       OpenCL C
    .language_version:
      - 2
      - 0
    .max_flat_workgroup_size: 1024
    .name:           _ZN2at6native12_GLOBAL__N_131pdist_backward_kernel_cuda_implIdNS1_5distsIdE6lt_twoEEEvPT_PKS6_S9_S9_llllS6_dd
    .private_segment_fixed_size: 0
    .sgpr_count:     54
    .sgpr_spill_count: 0
    .symbol:         _ZN2at6native12_GLOBAL__N_131pdist_backward_kernel_cuda_implIdNS1_5distsIdE6lt_twoEEEvPT_PKS6_S9_S9_llllS6_dd.kd
    .uniform_work_group_size: 1
    .uses_dynamic_stack: false
    .vgpr_count:     86
    .vgpr_spill_count: 0
    .wavefront_size: 64
  - .agpr_count:     0
    .args:
      - .address_space:  global
        .offset:         0
        .size:           8
        .value_kind:     global_buffer
      - .address_space:  global
        .offset:         8
        .size:           8
        .value_kind:     global_buffer
      - .address_space:  global
        .offset:         16
        .size:           8
        .value_kind:     global_buffer
      - .address_space:  global
        .offset:         24
        .size:           8
        .value_kind:     global_buffer
      - .offset:         32
        .size:           8
        .value_kind:     by_value
      - .offset:         40
        .size:           8
        .value_kind:     by_value
      - .offset:         48
        .size:           8
        .value_kind:     by_value
      - .offset:         56
        .size:           8
        .value_kind:     by_value
      - .offset:         64
        .size:           8
        .value_kind:     by_value
      - .offset:         72
        .size:           8
        .value_kind:     by_value
      - .offset:         80
        .size:           8
        .value_kind:     by_value
      - .offset:         88
        .size:           4
        .value_kind:     hidden_block_count_x
      - .offset:         92
        .size:           4
        .value_kind:     hidden_block_count_y
      - .offset:         96
        .size:           4
        .value_kind:     hidden_block_count_z
      - .offset:         100
        .size:           2
        .value_kind:     hidden_group_size_x
      - .offset:         102
        .size:           2
        .value_kind:     hidden_group_size_y
      - .offset:         104
        .size:           2
        .value_kind:     hidden_group_size_z
      - .offset:         106
        .size:           2
        .value_kind:     hidden_remainder_x
      - .offset:         108
        .size:           2
        .value_kind:     hidden_remainder_y
      - .offset:         110
        .size:           2
        .value_kind:     hidden_remainder_z
      - .offset:         128
        .size:           8
        .value_kind:     hidden_global_offset_x
      - .offset:         136
        .size:           8
        .value_kind:     hidden_global_offset_y
      - .offset:         144
        .size:           8
        .value_kind:     hidden_global_offset_z
      - .offset:         152
        .size:           2
        .value_kind:     hidden_grid_dims
    .group_segment_fixed_size: 0
    .kernarg_segment_align: 8
    .kernarg_segment_size: 344
    .language:       OpenCL C
    .language_version:
      - 2
      - 0
    .max_flat_workgroup_size: 1024
    .name:           _ZN2at6native12_GLOBAL__N_131pdist_backward_kernel_cuda_implIdNS1_5distsIdE3twoEEEvPT_PKS6_S9_S9_llllS6_dd
    .private_segment_fixed_size: 0
    .sgpr_count:     32
    .sgpr_spill_count: 0
    .symbol:         _ZN2at6native12_GLOBAL__N_131pdist_backward_kernel_cuda_implIdNS1_5distsIdE3twoEEEvPT_PKS6_S9_S9_llllS6_dd.kd
    .uniform_work_group_size: 1
    .uses_dynamic_stack: false
    .vgpr_count:     28
    .vgpr_spill_count: 0
    .wavefront_size: 64
  - .agpr_count:     0
    .args:
      - .address_space:  global
        .offset:         0
        .size:           8
        .value_kind:     global_buffer
      - .address_space:  global
        .offset:         8
        .size:           8
        .value_kind:     global_buffer
      - .address_space:  global
        .offset:         16
        .size:           8
        .value_kind:     global_buffer
      - .address_space:  global
        .offset:         24
        .size:           8
        .value_kind:     global_buffer
      - .offset:         32
        .size:           8
        .value_kind:     by_value
      - .offset:         40
        .size:           8
        .value_kind:     by_value
      - .offset:         48
        .size:           8
        .value_kind:     by_value
      - .offset:         56
        .size:           8
        .value_kind:     by_value
      - .offset:         64
        .size:           8
        .value_kind:     by_value
      - .offset:         72
        .size:           8
        .value_kind:     by_value
      - .offset:         80
        .size:           8
        .value_kind:     by_value
      - .offset:         88
        .size:           4
        .value_kind:     hidden_block_count_x
      - .offset:         92
        .size:           4
        .value_kind:     hidden_block_count_y
      - .offset:         96
        .size:           4
        .value_kind:     hidden_block_count_z
      - .offset:         100
        .size:           2
        .value_kind:     hidden_group_size_x
      - .offset:         102
        .size:           2
        .value_kind:     hidden_group_size_y
      - .offset:         104
        .size:           2
        .value_kind:     hidden_group_size_z
      - .offset:         106
        .size:           2
        .value_kind:     hidden_remainder_x
      - .offset:         108
        .size:           2
        .value_kind:     hidden_remainder_y
      - .offset:         110
        .size:           2
        .value_kind:     hidden_remainder_z
      - .offset:         128
        .size:           8
        .value_kind:     hidden_global_offset_x
      - .offset:         136
        .size:           8
        .value_kind:     hidden_global_offset_y
      - .offset:         144
        .size:           8
        .value_kind:     hidden_global_offset_z
      - .offset:         152
        .size:           2
        .value_kind:     hidden_grid_dims
    .group_segment_fixed_size: 0
    .kernarg_segment_align: 8
    .kernarg_segment_size: 344
    .language:       OpenCL C
    .language_version:
      - 2
      - 0
    .max_flat_workgroup_size: 1024
    .name:           _ZN2at6native12_GLOBAL__N_131pdist_backward_kernel_cuda_implIdNS1_5distsIdE3infEEEvPT_PKS6_S9_S9_llllS6_dd
    .private_segment_fixed_size: 0
    .sgpr_count:     32
    .sgpr_spill_count: 0
    .symbol:         _ZN2at6native12_GLOBAL__N_131pdist_backward_kernel_cuda_implIdNS1_5distsIdE3infEEEvPT_PKS6_S9_S9_llllS6_dd.kd
    .uniform_work_group_size: 1
    .uses_dynamic_stack: false
    .vgpr_count:     30
    .vgpr_spill_count: 0
    .wavefront_size: 64
  - .agpr_count:     0
    .args:
      - .address_space:  global
        .offset:         0
        .size:           8
        .value_kind:     global_buffer
      - .address_space:  global
        .offset:         8
        .size:           8
        .value_kind:     global_buffer
      - .address_space:  global
        .offset:         16
        .size:           8
        .value_kind:     global_buffer
      - .address_space:  global
        .offset:         24
        .size:           8
        .value_kind:     global_buffer
      - .offset:         32
        .size:           8
        .value_kind:     by_value
      - .offset:         40
        .size:           8
        .value_kind:     by_value
      - .offset:         48
        .size:           8
        .value_kind:     by_value
      - .offset:         56
        .size:           8
        .value_kind:     by_value
      - .offset:         64
        .size:           4
        .value_kind:     by_value
      - .offset:         72
        .size:           8
        .value_kind:     by_value
      - .offset:         80
        .size:           8
        .value_kind:     by_value
      - .offset:         88
        .size:           4
        .value_kind:     hidden_block_count_x
      - .offset:         92
        .size:           4
        .value_kind:     hidden_block_count_y
      - .offset:         96
        .size:           4
        .value_kind:     hidden_block_count_z
      - .offset:         100
        .size:           2
        .value_kind:     hidden_group_size_x
      - .offset:         102
        .size:           2
        .value_kind:     hidden_group_size_y
      - .offset:         104
        .size:           2
        .value_kind:     hidden_group_size_z
      - .offset:         106
        .size:           2
        .value_kind:     hidden_remainder_x
      - .offset:         108
        .size:           2
        .value_kind:     hidden_remainder_y
      - .offset:         110
        .size:           2
        .value_kind:     hidden_remainder_z
      - .offset:         128
        .size:           8
        .value_kind:     hidden_global_offset_x
      - .offset:         136
        .size:           8
        .value_kind:     hidden_global_offset_y
      - .offset:         144
        .size:           8
        .value_kind:     hidden_global_offset_z
      - .offset:         152
        .size:           2
        .value_kind:     hidden_grid_dims
    .group_segment_fixed_size: 0
    .kernarg_segment_align: 8
    .kernarg_segment_size: 344
    .language:       OpenCL C
    .language_version:
      - 2
      - 0
    .max_flat_workgroup_size: 1024
    .name:           _ZN2at6native12_GLOBAL__N_131pdist_backward_kernel_cuda_implIfNS1_5distsIfE1pEEEvPT_PKS6_S9_S9_llllS6_dd
    .private_segment_fixed_size: 0
    .sgpr_count:     34
    .sgpr_spill_count: 0
    .symbol:         _ZN2at6native12_GLOBAL__N_131pdist_backward_kernel_cuda_implIfNS1_5distsIfE1pEEEvPT_PKS6_S9_S9_llllS6_dd.kd
    .uniform_work_group_size: 1
    .uses_dynamic_stack: false
    .vgpr_count:     42
    .vgpr_spill_count: 0
    .wavefront_size: 64
  - .agpr_count:     0
    .args:
      - .address_space:  global
        .offset:         0
        .size:           8
        .value_kind:     global_buffer
      - .address_space:  global
        .offset:         8
        .size:           8
        .value_kind:     global_buffer
      - .address_space:  global
        .offset:         16
        .size:           8
        .value_kind:     global_buffer
      - .address_space:  global
        .offset:         24
        .size:           8
        .value_kind:     global_buffer
      - .offset:         32
        .size:           8
        .value_kind:     by_value
      - .offset:         40
        .size:           8
        .value_kind:     by_value
      - .offset:         48
        .size:           8
        .value_kind:     by_value
      - .offset:         56
        .size:           8
        .value_kind:     by_value
      - .offset:         64
        .size:           4
        .value_kind:     by_value
      - .offset:         72
        .size:           8
        .value_kind:     by_value
      - .offset:         80
        .size:           8
        .value_kind:     by_value
      - .offset:         88
        .size:           4
        .value_kind:     hidden_block_count_x
      - .offset:         92
        .size:           4
        .value_kind:     hidden_block_count_y
      - .offset:         96
        .size:           4
        .value_kind:     hidden_block_count_z
      - .offset:         100
        .size:           2
        .value_kind:     hidden_group_size_x
      - .offset:         102
        .size:           2
        .value_kind:     hidden_group_size_y
      - .offset:         104
        .size:           2
        .value_kind:     hidden_group_size_z
      - .offset:         106
        .size:           2
        .value_kind:     hidden_remainder_x
      - .offset:         108
        .size:           2
        .value_kind:     hidden_remainder_y
      - .offset:         110
        .size:           2
        .value_kind:     hidden_remainder_z
      - .offset:         128
        .size:           8
        .value_kind:     hidden_global_offset_x
      - .offset:         136
        .size:           8
        .value_kind:     hidden_global_offset_y
      - .offset:         144
        .size:           8
        .value_kind:     hidden_global_offset_z
      - .offset:         152
        .size:           2
        .value_kind:     hidden_grid_dims
    .group_segment_fixed_size: 0
    .kernarg_segment_align: 8
    .kernarg_segment_size: 344
    .language:       OpenCL C
    .language_version:
      - 2
      - 0
    .max_flat_workgroup_size: 1024
    .name:           _ZN2at6native12_GLOBAL__N_131pdist_backward_kernel_cuda_implIfNS1_5distsIfE3oneEEEvPT_PKS6_S9_S9_llllS6_dd
    .private_segment_fixed_size: 0
    .sgpr_count:     28
    .sgpr_spill_count: 0
    .symbol:         _ZN2at6native12_GLOBAL__N_131pdist_backward_kernel_cuda_implIfNS1_5distsIfE3oneEEEvPT_PKS6_S9_S9_llllS6_dd.kd
    .uniform_work_group_size: 1
    .uses_dynamic_stack: false
    .vgpr_count:     21
    .vgpr_spill_count: 0
    .wavefront_size: 64
  - .agpr_count:     0
    .args:
      - .address_space:  global
        .offset:         0
        .size:           8
        .value_kind:     global_buffer
      - .address_space:  global
        .offset:         8
        .size:           8
        .value_kind:     global_buffer
      - .address_space:  global
        .offset:         16
        .size:           8
        .value_kind:     global_buffer
      - .address_space:  global
        .offset:         24
        .size:           8
        .value_kind:     global_buffer
      - .offset:         32
        .size:           8
        .value_kind:     by_value
      - .offset:         40
        .size:           8
        .value_kind:     by_value
      - .offset:         48
        .size:           8
        .value_kind:     by_value
      - .offset:         56
        .size:           8
        .value_kind:     by_value
      - .offset:         64
        .size:           4
        .value_kind:     by_value
      - .offset:         72
        .size:           8
        .value_kind:     by_value
      - .offset:         80
        .size:           8
        .value_kind:     by_value
      - .offset:         88
        .size:           4
        .value_kind:     hidden_block_count_x
      - .offset:         92
        .size:           4
        .value_kind:     hidden_block_count_y
      - .offset:         96
        .size:           4
        .value_kind:     hidden_block_count_z
      - .offset:         100
        .size:           2
        .value_kind:     hidden_group_size_x
      - .offset:         102
        .size:           2
        .value_kind:     hidden_group_size_y
      - .offset:         104
        .size:           2
        .value_kind:     hidden_group_size_z
      - .offset:         106
        .size:           2
        .value_kind:     hidden_remainder_x
      - .offset:         108
        .size:           2
        .value_kind:     hidden_remainder_y
      - .offset:         110
        .size:           2
        .value_kind:     hidden_remainder_z
      - .offset:         128
        .size:           8
        .value_kind:     hidden_global_offset_x
      - .offset:         136
        .size:           8
        .value_kind:     hidden_global_offset_y
      - .offset:         144
        .size:           8
        .value_kind:     hidden_global_offset_z
      - .offset:         152
        .size:           2
        .value_kind:     hidden_grid_dims
    .group_segment_fixed_size: 0
    .kernarg_segment_align: 8
    .kernarg_segment_size: 344
    .language:       OpenCL C
    .language_version:
      - 2
      - 0
    .max_flat_workgroup_size: 1024
    .name:           _ZN2at6native12_GLOBAL__N_131pdist_backward_kernel_cuda_implIfNS1_5distsIfE6lt_twoEEEvPT_PKS6_S9_S9_llllS6_dd
    .private_segment_fixed_size: 0
    .sgpr_count:     32
    .sgpr_spill_count: 0
    .symbol:         _ZN2at6native12_GLOBAL__N_131pdist_backward_kernel_cuda_implIfNS1_5distsIfE6lt_twoEEEvPT_PKS6_S9_S9_llllS6_dd.kd
    .uniform_work_group_size: 1
    .uses_dynamic_stack: false
    .vgpr_count:     38
    .vgpr_spill_count: 0
    .wavefront_size: 64
  - .agpr_count:     0
    .args:
      - .address_space:  global
        .offset:         0
        .size:           8
        .value_kind:     global_buffer
      - .address_space:  global
        .offset:         8
        .size:           8
        .value_kind:     global_buffer
      - .address_space:  global
        .offset:         16
        .size:           8
        .value_kind:     global_buffer
      - .address_space:  global
        .offset:         24
        .size:           8
        .value_kind:     global_buffer
      - .offset:         32
        .size:           8
        .value_kind:     by_value
      - .offset:         40
        .size:           8
        .value_kind:     by_value
      - .offset:         48
        .size:           8
        .value_kind:     by_value
      - .offset:         56
        .size:           8
        .value_kind:     by_value
      - .offset:         64
        .size:           4
        .value_kind:     by_value
      - .offset:         72
        .size:           8
        .value_kind:     by_value
      - .offset:         80
        .size:           8
        .value_kind:     by_value
      - .offset:         88
        .size:           4
        .value_kind:     hidden_block_count_x
      - .offset:         92
        .size:           4
        .value_kind:     hidden_block_count_y
      - .offset:         96
        .size:           4
        .value_kind:     hidden_block_count_z
      - .offset:         100
        .size:           2
        .value_kind:     hidden_group_size_x
      - .offset:         102
        .size:           2
        .value_kind:     hidden_group_size_y
      - .offset:         104
        .size:           2
        .value_kind:     hidden_group_size_z
      - .offset:         106
        .size:           2
        .value_kind:     hidden_remainder_x
      - .offset:         108
        .size:           2
        .value_kind:     hidden_remainder_y
      - .offset:         110
        .size:           2
        .value_kind:     hidden_remainder_z
      - .offset:         128
        .size:           8
        .value_kind:     hidden_global_offset_x
      - .offset:         136
        .size:           8
        .value_kind:     hidden_global_offset_y
      - .offset:         144
        .size:           8
        .value_kind:     hidden_global_offset_z
      - .offset:         152
        .size:           2
        .value_kind:     hidden_grid_dims
    .group_segment_fixed_size: 0
    .kernarg_segment_align: 8
    .kernarg_segment_size: 344
    .language:       OpenCL C
    .language_version:
      - 2
      - 0
    .max_flat_workgroup_size: 1024
    .name:           _ZN2at6native12_GLOBAL__N_131pdist_backward_kernel_cuda_implIfNS1_5distsIfE3twoEEEvPT_PKS6_S9_S9_llllS6_dd
    .private_segment_fixed_size: 0
    .sgpr_count:     32
    .sgpr_spill_count: 0
    .symbol:         _ZN2at6native12_GLOBAL__N_131pdist_backward_kernel_cuda_implIfNS1_5distsIfE3twoEEEvPT_PKS6_S9_S9_llllS6_dd.kd
    .uniform_work_group_size: 1
    .uses_dynamic_stack: false
    .vgpr_count:     22
    .vgpr_spill_count: 0
    .wavefront_size: 64
  - .agpr_count:     0
    .args:
      - .address_space:  global
        .offset:         0
        .size:           8
        .value_kind:     global_buffer
      - .address_space:  global
        .offset:         8
        .size:           8
        .value_kind:     global_buffer
      - .address_space:  global
        .offset:         16
        .size:           8
        .value_kind:     global_buffer
      - .address_space:  global
        .offset:         24
        .size:           8
        .value_kind:     global_buffer
      - .offset:         32
        .size:           8
        .value_kind:     by_value
      - .offset:         40
        .size:           8
        .value_kind:     by_value
      - .offset:         48
        .size:           8
        .value_kind:     by_value
      - .offset:         56
        .size:           8
        .value_kind:     by_value
      - .offset:         64
        .size:           4
        .value_kind:     by_value
      - .offset:         72
        .size:           8
        .value_kind:     by_value
      - .offset:         80
        .size:           8
        .value_kind:     by_value
      - .offset:         88
        .size:           4
        .value_kind:     hidden_block_count_x
      - .offset:         92
        .size:           4
        .value_kind:     hidden_block_count_y
      - .offset:         96
        .size:           4
        .value_kind:     hidden_block_count_z
      - .offset:         100
        .size:           2
        .value_kind:     hidden_group_size_x
      - .offset:         102
        .size:           2
        .value_kind:     hidden_group_size_y
      - .offset:         104
        .size:           2
        .value_kind:     hidden_group_size_z
      - .offset:         106
        .size:           2
        .value_kind:     hidden_remainder_x
      - .offset:         108
        .size:           2
        .value_kind:     hidden_remainder_y
      - .offset:         110
        .size:           2
        .value_kind:     hidden_remainder_z
      - .offset:         128
        .size:           8
        .value_kind:     hidden_global_offset_x
      - .offset:         136
        .size:           8
        .value_kind:     hidden_global_offset_y
      - .offset:         144
        .size:           8
        .value_kind:     hidden_global_offset_z
      - .offset:         152
        .size:           2
        .value_kind:     hidden_grid_dims
    .group_segment_fixed_size: 0
    .kernarg_segment_align: 8
    .kernarg_segment_size: 344
    .language:       OpenCL C
    .language_version:
      - 2
      - 0
    .max_flat_workgroup_size: 1024
    .name:           _ZN2at6native12_GLOBAL__N_131pdist_backward_kernel_cuda_implIfNS1_5distsIfE3infEEEvPT_PKS6_S9_S9_llllS6_dd
    .private_segment_fixed_size: 0
    .sgpr_count:     32
    .sgpr_spill_count: 0
    .symbol:         _ZN2at6native12_GLOBAL__N_131pdist_backward_kernel_cuda_implIfNS1_5distsIfE3infEEEvPT_PKS6_S9_S9_llllS6_dd.kd
    .uniform_work_group_size: 1
    .uses_dynamic_stack: false
    .vgpr_count:     22
    .vgpr_spill_count: 0
    .wavefront_size: 64
  - .agpr_count:     0
    .args:
      - .address_space:  global
        .offset:         0
        .size:           8
        .value_kind:     global_buffer
      - .address_space:  global
        .offset:         8
        .size:           8
        .value_kind:     global_buffer
      - .address_space:  global
        .offset:         16
        .size:           8
        .value_kind:     global_buffer
      - .address_space:  global
        .offset:         24
        .size:           8
        .value_kind:     global_buffer
      - .address_space:  global
        .offset:         32
        .size:           8
        .value_kind:     global_buffer
      - .offset:         40
        .size:           8
        .value_kind:     by_value
      - .offset:         48
        .size:           8
        .value_kind:     by_value
      - .offset:         56
        .size:           8
        .value_kind:     by_value
      - .offset:         64
        .size:           8
        .value_kind:     by_value
      - .offset:         72
        .size:           8
        .value_kind:     by_value
      - .offset:         80
        .size:           8
        .value_kind:     by_value
      - .offset:         88
        .size:           8
        .value_kind:     by_value
      - .offset:         96
        .size:           8
        .value_kind:     by_value
      - .offset:         104
        .size:           4
        .value_kind:     hidden_block_count_x
      - .offset:         108
        .size:           4
        .value_kind:     hidden_block_count_y
      - .offset:         112
        .size:           4
        .value_kind:     hidden_block_count_z
      - .offset:         116
        .size:           2
        .value_kind:     hidden_group_size_x
      - .offset:         118
        .size:           2
        .value_kind:     hidden_group_size_y
      - .offset:         120
        .size:           2
        .value_kind:     hidden_group_size_z
      - .offset:         122
        .size:           2
        .value_kind:     hidden_remainder_x
      - .offset:         124
        .size:           2
        .value_kind:     hidden_remainder_y
      - .offset:         126
        .size:           2
        .value_kind:     hidden_remainder_z
      - .offset:         144
        .size:           8
        .value_kind:     hidden_global_offset_x
      - .offset:         152
        .size:           8
        .value_kind:     hidden_global_offset_y
      - .offset:         160
        .size:           8
        .value_kind:     hidden_global_offset_z
      - .offset:         168
        .size:           2
        .value_kind:     hidden_grid_dims
    .group_segment_fixed_size: 0
    .kernarg_segment_align: 8
    .kernarg_segment_size: 360
    .language:       OpenCL C
    .language_version:
      - 2
      - 0
    .max_flat_workgroup_size: 1024
    .name:           _ZN2at6native12_GLOBAL__N_131cdist_backward_kernel_cuda_implIdNS1_5distsIdE1pEEEvPT_PKS6_S9_S9_S9_S6_lllllll
    .private_segment_fixed_size: 0
    .sgpr_count:     52
    .sgpr_spill_count: 0
    .symbol:         _ZN2at6native12_GLOBAL__N_131cdist_backward_kernel_cuda_implIdNS1_5distsIdE1pEEEvPT_PKS6_S9_S9_S9_S6_lllllll.kd
    .uniform_work_group_size: 1
    .uses_dynamic_stack: false
    .vgpr_count:     80
    .vgpr_spill_count: 0
    .wavefront_size: 64
  - .agpr_count:     0
    .args:
      - .address_space:  global
        .offset:         0
        .size:           8
        .value_kind:     global_buffer
      - .address_space:  global
        .offset:         8
        .size:           8
        .value_kind:     global_buffer
      - .address_space:  global
        .offset:         16
        .size:           8
        .value_kind:     global_buffer
      - .address_space:  global
        .offset:         24
        .size:           8
        .value_kind:     global_buffer
      - .address_space:  global
        .offset:         32
        .size:           8
        .value_kind:     global_buffer
      - .offset:         40
        .size:           8
        .value_kind:     by_value
      - .offset:         48
        .size:           8
        .value_kind:     by_value
      - .offset:         56
        .size:           8
        .value_kind:     by_value
      - .offset:         64
        .size:           8
        .value_kind:     by_value
      - .offset:         72
        .size:           8
        .value_kind:     by_value
      - .offset:         80
        .size:           8
        .value_kind:     by_value
      - .offset:         88
        .size:           8
        .value_kind:     by_value
      - .offset:         96
        .size:           8
        .value_kind:     by_value
      - .offset:         104
        .size:           4
        .value_kind:     hidden_block_count_x
      - .offset:         108
        .size:           4
        .value_kind:     hidden_block_count_y
      - .offset:         112
        .size:           4
        .value_kind:     hidden_block_count_z
      - .offset:         116
        .size:           2
        .value_kind:     hidden_group_size_x
      - .offset:         118
        .size:           2
        .value_kind:     hidden_group_size_y
      - .offset:         120
        .size:           2
        .value_kind:     hidden_group_size_z
      - .offset:         122
        .size:           2
        .value_kind:     hidden_remainder_x
      - .offset:         124
        .size:           2
        .value_kind:     hidden_remainder_y
      - .offset:         126
        .size:           2
        .value_kind:     hidden_remainder_z
      - .offset:         144
        .size:           8
        .value_kind:     hidden_global_offset_x
      - .offset:         152
        .size:           8
        .value_kind:     hidden_global_offset_y
      - .offset:         160
        .size:           8
        .value_kind:     hidden_global_offset_z
      - .offset:         168
        .size:           2
        .value_kind:     hidden_grid_dims
    .group_segment_fixed_size: 0
    .kernarg_segment_align: 8
    .kernarg_segment_size: 360
    .language:       OpenCL C
    .language_version:
      - 2
      - 0
    .max_flat_workgroup_size: 1024
    .name:           _ZN2at6native12_GLOBAL__N_131cdist_backward_kernel_cuda_implIdNS1_5distsIdE3oneEEEvPT_PKS6_S9_S9_S9_S6_lllllll
    .private_segment_fixed_size: 0
    .sgpr_count:     50
    .sgpr_spill_count: 0
    .symbol:         _ZN2at6native12_GLOBAL__N_131cdist_backward_kernel_cuda_implIdNS1_5distsIdE3oneEEEvPT_PKS6_S9_S9_S9_S6_lllllll.kd
    .uniform_work_group_size: 1
    .uses_dynamic_stack: false
    .vgpr_count:     24
    .vgpr_spill_count: 0
    .wavefront_size: 64
  - .agpr_count:     0
    .args:
      - .address_space:  global
        .offset:         0
        .size:           8
        .value_kind:     global_buffer
      - .address_space:  global
        .offset:         8
        .size:           8
        .value_kind:     global_buffer
      - .address_space:  global
        .offset:         16
        .size:           8
        .value_kind:     global_buffer
      - .address_space:  global
        .offset:         24
        .size:           8
        .value_kind:     global_buffer
      - .address_space:  global
        .offset:         32
        .size:           8
        .value_kind:     global_buffer
      - .offset:         40
        .size:           8
        .value_kind:     by_value
      - .offset:         48
        .size:           8
        .value_kind:     by_value
      - .offset:         56
        .size:           8
        .value_kind:     by_value
      - .offset:         64
        .size:           8
        .value_kind:     by_value
      - .offset:         72
        .size:           8
        .value_kind:     by_value
      - .offset:         80
        .size:           8
        .value_kind:     by_value
      - .offset:         88
        .size:           8
        .value_kind:     by_value
      - .offset:         96
        .size:           8
        .value_kind:     by_value
      - .offset:         104
        .size:           4
        .value_kind:     hidden_block_count_x
      - .offset:         108
        .size:           4
        .value_kind:     hidden_block_count_y
      - .offset:         112
        .size:           4
        .value_kind:     hidden_block_count_z
      - .offset:         116
        .size:           2
        .value_kind:     hidden_group_size_x
      - .offset:         118
        .size:           2
        .value_kind:     hidden_group_size_y
      - .offset:         120
        .size:           2
        .value_kind:     hidden_group_size_z
      - .offset:         122
        .size:           2
        .value_kind:     hidden_remainder_x
      - .offset:         124
        .size:           2
        .value_kind:     hidden_remainder_y
      - .offset:         126
        .size:           2
        .value_kind:     hidden_remainder_z
      - .offset:         144
        .size:           8
        .value_kind:     hidden_global_offset_x
      - .offset:         152
        .size:           8
        .value_kind:     hidden_global_offset_y
      - .offset:         160
        .size:           8
        .value_kind:     hidden_global_offset_z
      - .offset:         168
        .size:           2
        .value_kind:     hidden_grid_dims
    .group_segment_fixed_size: 0
    .kernarg_segment_align: 8
    .kernarg_segment_size: 360
    .language:       OpenCL C
    .language_version:
      - 2
      - 0
    .max_flat_workgroup_size: 1024
    .name:           _ZN2at6native12_GLOBAL__N_131cdist_backward_kernel_cuda_implIdNS1_5distsIdE6lt_twoEEEvPT_PKS6_S9_S9_S9_S6_lllllll
    .private_segment_fixed_size: 0
    .sgpr_count:     54
    .sgpr_spill_count: 0
    .symbol:         _ZN2at6native12_GLOBAL__N_131cdist_backward_kernel_cuda_implIdNS1_5distsIdE6lt_twoEEEvPT_PKS6_S9_S9_S9_S6_lllllll.kd
    .uniform_work_group_size: 1
    .uses_dynamic_stack: false
    .vgpr_count:     80
    .vgpr_spill_count: 0
    .wavefront_size: 64
  - .agpr_count:     0
    .args:
      - .address_space:  global
        .offset:         0
        .size:           8
        .value_kind:     global_buffer
      - .address_space:  global
        .offset:         8
        .size:           8
        .value_kind:     global_buffer
      - .address_space:  global
        .offset:         16
        .size:           8
        .value_kind:     global_buffer
      - .address_space:  global
        .offset:         24
        .size:           8
        .value_kind:     global_buffer
      - .address_space:  global
        .offset:         32
        .size:           8
        .value_kind:     global_buffer
      - .offset:         40
        .size:           8
        .value_kind:     by_value
      - .offset:         48
        .size:           8
        .value_kind:     by_value
      - .offset:         56
        .size:           8
        .value_kind:     by_value
      - .offset:         64
        .size:           8
        .value_kind:     by_value
      - .offset:         72
        .size:           8
        .value_kind:     by_value
      - .offset:         80
        .size:           8
        .value_kind:     by_value
      - .offset:         88
        .size:           8
        .value_kind:     by_value
      - .offset:         96
        .size:           8
        .value_kind:     by_value
      - .offset:         104
        .size:           4
        .value_kind:     hidden_block_count_x
      - .offset:         108
        .size:           4
        .value_kind:     hidden_block_count_y
      - .offset:         112
        .size:           4
        .value_kind:     hidden_block_count_z
      - .offset:         116
        .size:           2
        .value_kind:     hidden_group_size_x
      - .offset:         118
        .size:           2
        .value_kind:     hidden_group_size_y
      - .offset:         120
        .size:           2
        .value_kind:     hidden_group_size_z
      - .offset:         122
        .size:           2
        .value_kind:     hidden_remainder_x
      - .offset:         124
        .size:           2
        .value_kind:     hidden_remainder_y
      - .offset:         126
        .size:           2
        .value_kind:     hidden_remainder_z
      - .offset:         144
        .size:           8
        .value_kind:     hidden_global_offset_x
      - .offset:         152
        .size:           8
        .value_kind:     hidden_global_offset_y
      - .offset:         160
        .size:           8
        .value_kind:     hidden_global_offset_z
      - .offset:         168
        .size:           2
        .value_kind:     hidden_grid_dims
    .group_segment_fixed_size: 0
    .kernarg_segment_align: 8
    .kernarg_segment_size: 360
    .language:       OpenCL C
    .language_version:
      - 2
      - 0
    .max_flat_workgroup_size: 1024
    .name:           _ZN2at6native12_GLOBAL__N_131cdist_backward_kernel_cuda_implIdNS1_5distsIdE3twoEEEvPT_PKS6_S9_S9_S9_S6_lllllll
    .private_segment_fixed_size: 0
    .sgpr_count:     40
    .sgpr_spill_count: 0
    .symbol:         _ZN2at6native12_GLOBAL__N_131cdist_backward_kernel_cuda_implIdNS1_5distsIdE3twoEEEvPT_PKS6_S9_S9_S9_S6_lllllll.kd
    .uniform_work_group_size: 1
    .uses_dynamic_stack: false
    .vgpr_count:     28
    .vgpr_spill_count: 0
    .wavefront_size: 64
  - .agpr_count:     0
    .args:
      - .address_space:  global
        .offset:         0
        .size:           8
        .value_kind:     global_buffer
      - .address_space:  global
        .offset:         8
        .size:           8
        .value_kind:     global_buffer
      - .address_space:  global
        .offset:         16
        .size:           8
        .value_kind:     global_buffer
      - .address_space:  global
        .offset:         24
        .size:           8
        .value_kind:     global_buffer
      - .address_space:  global
        .offset:         32
        .size:           8
        .value_kind:     global_buffer
      - .offset:         40
        .size:           8
        .value_kind:     by_value
      - .offset:         48
        .size:           8
        .value_kind:     by_value
      - .offset:         56
        .size:           8
        .value_kind:     by_value
      - .offset:         64
        .size:           8
        .value_kind:     by_value
      - .offset:         72
        .size:           8
        .value_kind:     by_value
      - .offset:         80
        .size:           8
        .value_kind:     by_value
      - .offset:         88
        .size:           8
        .value_kind:     by_value
      - .offset:         96
        .size:           8
        .value_kind:     by_value
      - .offset:         104
        .size:           4
        .value_kind:     hidden_block_count_x
      - .offset:         108
        .size:           4
        .value_kind:     hidden_block_count_y
      - .offset:         112
        .size:           4
        .value_kind:     hidden_block_count_z
      - .offset:         116
        .size:           2
        .value_kind:     hidden_group_size_x
      - .offset:         118
        .size:           2
        .value_kind:     hidden_group_size_y
      - .offset:         120
        .size:           2
        .value_kind:     hidden_group_size_z
      - .offset:         122
        .size:           2
        .value_kind:     hidden_remainder_x
      - .offset:         124
        .size:           2
        .value_kind:     hidden_remainder_y
      - .offset:         126
        .size:           2
        .value_kind:     hidden_remainder_z
      - .offset:         144
        .size:           8
        .value_kind:     hidden_global_offset_x
      - .offset:         152
        .size:           8
        .value_kind:     hidden_global_offset_y
      - .offset:         160
        .size:           8
        .value_kind:     hidden_global_offset_z
      - .offset:         168
        .size:           2
        .value_kind:     hidden_grid_dims
    .group_segment_fixed_size: 0
    .kernarg_segment_align: 8
    .kernarg_segment_size: 360
    .language:       OpenCL C
    .language_version:
      - 2
      - 0
    .max_flat_workgroup_size: 1024
    .name:           _ZN2at6native12_GLOBAL__N_131cdist_backward_kernel_cuda_implIdNS1_5distsIdE3infEEEvPT_PKS6_S9_S9_S9_S6_lllllll
    .private_segment_fixed_size: 0
    .sgpr_count:     40
    .sgpr_spill_count: 0
    .symbol:         _ZN2at6native12_GLOBAL__N_131cdist_backward_kernel_cuda_implIdNS1_5distsIdE3infEEEvPT_PKS6_S9_S9_S9_S6_lllllll.kd
    .uniform_work_group_size: 1
    .uses_dynamic_stack: false
    .vgpr_count:     28
    .vgpr_spill_count: 0
    .wavefront_size: 64
  - .agpr_count:     0
    .args:
      - .address_space:  global
        .offset:         0
        .size:           8
        .value_kind:     global_buffer
      - .address_space:  global
        .offset:         8
        .size:           8
        .value_kind:     global_buffer
      - .address_space:  global
        .offset:         16
        .size:           8
        .value_kind:     global_buffer
      - .address_space:  global
        .offset:         24
        .size:           8
        .value_kind:     global_buffer
      - .address_space:  global
        .offset:         32
        .size:           8
        .value_kind:     global_buffer
      - .offset:         40
        .size:           4
        .value_kind:     by_value
      - .offset:         48
        .size:           8
        .value_kind:     by_value
      - .offset:         56
        .size:           8
        .value_kind:     by_value
      - .offset:         64
        .size:           8
        .value_kind:     by_value
      - .offset:         72
        .size:           8
        .value_kind:     by_value
      - .offset:         80
        .size:           8
        .value_kind:     by_value
      - .offset:         88
        .size:           8
        .value_kind:     by_value
      - .offset:         96
        .size:           8
        .value_kind:     by_value
      - .offset:         104
        .size:           4
        .value_kind:     hidden_block_count_x
      - .offset:         108
        .size:           4
        .value_kind:     hidden_block_count_y
      - .offset:         112
        .size:           4
        .value_kind:     hidden_block_count_z
      - .offset:         116
        .size:           2
        .value_kind:     hidden_group_size_x
      - .offset:         118
        .size:           2
        .value_kind:     hidden_group_size_y
      - .offset:         120
        .size:           2
        .value_kind:     hidden_group_size_z
      - .offset:         122
        .size:           2
        .value_kind:     hidden_remainder_x
      - .offset:         124
        .size:           2
        .value_kind:     hidden_remainder_y
      - .offset:         126
        .size:           2
        .value_kind:     hidden_remainder_z
      - .offset:         144
        .size:           8
        .value_kind:     hidden_global_offset_x
      - .offset:         152
        .size:           8
        .value_kind:     hidden_global_offset_y
      - .offset:         160
        .size:           8
        .value_kind:     hidden_global_offset_z
      - .offset:         168
        .size:           2
        .value_kind:     hidden_grid_dims
    .group_segment_fixed_size: 0
    .kernarg_segment_align: 8
    .kernarg_segment_size: 360
    .language:       OpenCL C
    .language_version:
      - 2
      - 0
    .max_flat_workgroup_size: 1024
    .name:           _ZN2at6native12_GLOBAL__N_131cdist_backward_kernel_cuda_implIfNS1_5distsIfE1pEEEvPT_PKS6_S9_S9_S9_S6_lllllll
    .private_segment_fixed_size: 0
    .sgpr_count:     40
    .sgpr_spill_count: 0
    .symbol:         _ZN2at6native12_GLOBAL__N_131cdist_backward_kernel_cuda_implIfNS1_5distsIfE1pEEEvPT_PKS6_S9_S9_S9_S6_lllllll.kd
    .uniform_work_group_size: 1
    .uses_dynamic_stack: false
    .vgpr_count:     40
    .vgpr_spill_count: 0
    .wavefront_size: 64
  - .agpr_count:     0
    .args:
      - .address_space:  global
        .offset:         0
        .size:           8
        .value_kind:     global_buffer
      - .address_space:  global
        .offset:         8
        .size:           8
        .value_kind:     global_buffer
      - .address_space:  global
        .offset:         16
        .size:           8
        .value_kind:     global_buffer
      - .address_space:  global
        .offset:         24
        .size:           8
        .value_kind:     global_buffer
      - .address_space:  global
        .offset:         32
        .size:           8
        .value_kind:     global_buffer
      - .offset:         40
        .size:           4
        .value_kind:     by_value
      - .offset:         48
        .size:           8
        .value_kind:     by_value
      - .offset:         56
        .size:           8
        .value_kind:     by_value
      - .offset:         64
        .size:           8
        .value_kind:     by_value
      - .offset:         72
        .size:           8
        .value_kind:     by_value
      - .offset:         80
        .size:           8
        .value_kind:     by_value
      - .offset:         88
        .size:           8
        .value_kind:     by_value
      - .offset:         96
        .size:           8
        .value_kind:     by_value
      - .offset:         104
        .size:           4
        .value_kind:     hidden_block_count_x
      - .offset:         108
        .size:           4
        .value_kind:     hidden_block_count_y
      - .offset:         112
        .size:           4
        .value_kind:     hidden_block_count_z
      - .offset:         116
        .size:           2
        .value_kind:     hidden_group_size_x
      - .offset:         118
        .size:           2
        .value_kind:     hidden_group_size_y
      - .offset:         120
        .size:           2
        .value_kind:     hidden_group_size_z
      - .offset:         122
        .size:           2
        .value_kind:     hidden_remainder_x
      - .offset:         124
        .size:           2
        .value_kind:     hidden_remainder_y
      - .offset:         126
        .size:           2
        .value_kind:     hidden_remainder_z
      - .offset:         144
        .size:           8
        .value_kind:     hidden_global_offset_x
      - .offset:         152
        .size:           8
        .value_kind:     hidden_global_offset_y
      - .offset:         160
        .size:           8
        .value_kind:     hidden_global_offset_z
      - .offset:         168
        .size:           2
        .value_kind:     hidden_grid_dims
    .group_segment_fixed_size: 0
    .kernarg_segment_align: 8
    .kernarg_segment_size: 360
    .language:       OpenCL C
    .language_version:
      - 2
      - 0
    .max_flat_workgroup_size: 1024
    .name:           _ZN2at6native12_GLOBAL__N_131cdist_backward_kernel_cuda_implIfNS1_5distsIfE3oneEEEvPT_PKS6_S9_S9_S9_S6_lllllll
    .private_segment_fixed_size: 0
    .sgpr_count:     50
    .sgpr_spill_count: 0
    .symbol:         _ZN2at6native12_GLOBAL__N_131cdist_backward_kernel_cuda_implIfNS1_5distsIfE3oneEEEvPT_PKS6_S9_S9_S9_S6_lllllll.kd
    .uniform_work_group_size: 1
    .uses_dynamic_stack: false
    .vgpr_count:     23
    .vgpr_spill_count: 0
    .wavefront_size: 64
  - .agpr_count:     0
    .args:
      - .address_space:  global
        .offset:         0
        .size:           8
        .value_kind:     global_buffer
      - .address_space:  global
        .offset:         8
        .size:           8
        .value_kind:     global_buffer
      - .address_space:  global
        .offset:         16
        .size:           8
        .value_kind:     global_buffer
      - .address_space:  global
        .offset:         24
        .size:           8
        .value_kind:     global_buffer
      - .address_space:  global
        .offset:         32
        .size:           8
        .value_kind:     global_buffer
      - .offset:         40
        .size:           4
        .value_kind:     by_value
      - .offset:         48
        .size:           8
        .value_kind:     by_value
      - .offset:         56
        .size:           8
        .value_kind:     by_value
      - .offset:         64
        .size:           8
        .value_kind:     by_value
      - .offset:         72
        .size:           8
        .value_kind:     by_value
      - .offset:         80
        .size:           8
        .value_kind:     by_value
      - .offset:         88
        .size:           8
        .value_kind:     by_value
      - .offset:         96
        .size:           8
        .value_kind:     by_value
      - .offset:         104
        .size:           4
        .value_kind:     hidden_block_count_x
      - .offset:         108
        .size:           4
        .value_kind:     hidden_block_count_y
      - .offset:         112
        .size:           4
        .value_kind:     hidden_block_count_z
      - .offset:         116
        .size:           2
        .value_kind:     hidden_group_size_x
      - .offset:         118
        .size:           2
        .value_kind:     hidden_group_size_y
      - .offset:         120
        .size:           2
        .value_kind:     hidden_group_size_z
      - .offset:         122
        .size:           2
        .value_kind:     hidden_remainder_x
      - .offset:         124
        .size:           2
        .value_kind:     hidden_remainder_y
      - .offset:         126
        .size:           2
        .value_kind:     hidden_remainder_z
      - .offset:         144
        .size:           8
        .value_kind:     hidden_global_offset_x
      - .offset:         152
        .size:           8
        .value_kind:     hidden_global_offset_y
      - .offset:         160
        .size:           8
        .value_kind:     hidden_global_offset_z
      - .offset:         168
        .size:           2
        .value_kind:     hidden_grid_dims
    .group_segment_fixed_size: 0
    .kernarg_segment_align: 8
    .kernarg_segment_size: 360
    .language:       OpenCL C
    .language_version:
      - 2
      - 0
    .max_flat_workgroup_size: 1024
    .name:           _ZN2at6native12_GLOBAL__N_131cdist_backward_kernel_cuda_implIfNS1_5distsIfE6lt_twoEEEvPT_PKS6_S9_S9_S9_S6_lllllll
    .private_segment_fixed_size: 0
    .sgpr_count:     40
    .sgpr_spill_count: 0
    .symbol:         _ZN2at6native12_GLOBAL__N_131cdist_backward_kernel_cuda_implIfNS1_5distsIfE6lt_twoEEEvPT_PKS6_S9_S9_S9_S6_lllllll.kd
    .uniform_work_group_size: 1
    .uses_dynamic_stack: false
    .vgpr_count:     36
    .vgpr_spill_count: 0
    .wavefront_size: 64
  - .agpr_count:     0
    .args:
      - .address_space:  global
        .offset:         0
        .size:           8
        .value_kind:     global_buffer
      - .address_space:  global
        .offset:         8
        .size:           8
        .value_kind:     global_buffer
      - .address_space:  global
        .offset:         16
        .size:           8
        .value_kind:     global_buffer
      - .address_space:  global
        .offset:         24
        .size:           8
        .value_kind:     global_buffer
      - .address_space:  global
        .offset:         32
        .size:           8
        .value_kind:     global_buffer
      - .offset:         40
        .size:           4
        .value_kind:     by_value
      - .offset:         48
        .size:           8
        .value_kind:     by_value
      - .offset:         56
        .size:           8
        .value_kind:     by_value
      - .offset:         64
        .size:           8
        .value_kind:     by_value
      - .offset:         72
        .size:           8
        .value_kind:     by_value
      - .offset:         80
        .size:           8
        .value_kind:     by_value
      - .offset:         88
        .size:           8
        .value_kind:     by_value
      - .offset:         96
        .size:           8
        .value_kind:     by_value
      - .offset:         104
        .size:           4
        .value_kind:     hidden_block_count_x
      - .offset:         108
        .size:           4
        .value_kind:     hidden_block_count_y
      - .offset:         112
        .size:           4
        .value_kind:     hidden_block_count_z
      - .offset:         116
        .size:           2
        .value_kind:     hidden_group_size_x
      - .offset:         118
        .size:           2
        .value_kind:     hidden_group_size_y
      - .offset:         120
        .size:           2
        .value_kind:     hidden_group_size_z
      - .offset:         122
        .size:           2
        .value_kind:     hidden_remainder_x
      - .offset:         124
        .size:           2
        .value_kind:     hidden_remainder_y
      - .offset:         126
        .size:           2
        .value_kind:     hidden_remainder_z
      - .offset:         144
        .size:           8
        .value_kind:     hidden_global_offset_x
      - .offset:         152
        .size:           8
        .value_kind:     hidden_global_offset_y
      - .offset:         160
        .size:           8
        .value_kind:     hidden_global_offset_z
      - .offset:         168
        .size:           2
        .value_kind:     hidden_grid_dims
    .group_segment_fixed_size: 0
    .kernarg_segment_align: 8
    .kernarg_segment_size: 360
    .language:       OpenCL C
    .language_version:
      - 2
      - 0
    .max_flat_workgroup_size: 1024
    .name:           _ZN2at6native12_GLOBAL__N_131cdist_backward_kernel_cuda_implIfNS1_5distsIfE3twoEEEvPT_PKS6_S9_S9_S9_S6_lllllll
    .private_segment_fixed_size: 0
    .sgpr_count:     40
    .sgpr_spill_count: 0
    .symbol:         _ZN2at6native12_GLOBAL__N_131cdist_backward_kernel_cuda_implIfNS1_5distsIfE3twoEEEvPT_PKS6_S9_S9_S9_S6_lllllll.kd
    .uniform_work_group_size: 1
    .uses_dynamic_stack: false
    .vgpr_count:     26
    .vgpr_spill_count: 0
    .wavefront_size: 64
  - .agpr_count:     0
    .args:
      - .address_space:  global
        .offset:         0
        .size:           8
        .value_kind:     global_buffer
      - .address_space:  global
        .offset:         8
        .size:           8
        .value_kind:     global_buffer
      - .address_space:  global
        .offset:         16
        .size:           8
        .value_kind:     global_buffer
      - .address_space:  global
        .offset:         24
        .size:           8
        .value_kind:     global_buffer
      - .address_space:  global
        .offset:         32
        .size:           8
        .value_kind:     global_buffer
      - .offset:         40
        .size:           4
        .value_kind:     by_value
      - .offset:         48
        .size:           8
        .value_kind:     by_value
      - .offset:         56
        .size:           8
        .value_kind:     by_value
      - .offset:         64
        .size:           8
        .value_kind:     by_value
      - .offset:         72
        .size:           8
        .value_kind:     by_value
      - .offset:         80
        .size:           8
        .value_kind:     by_value
      - .offset:         88
        .size:           8
        .value_kind:     by_value
      - .offset:         96
        .size:           8
        .value_kind:     by_value
      - .offset:         104
        .size:           4
        .value_kind:     hidden_block_count_x
      - .offset:         108
        .size:           4
        .value_kind:     hidden_block_count_y
      - .offset:         112
        .size:           4
        .value_kind:     hidden_block_count_z
      - .offset:         116
        .size:           2
        .value_kind:     hidden_group_size_x
      - .offset:         118
        .size:           2
        .value_kind:     hidden_group_size_y
      - .offset:         120
        .size:           2
        .value_kind:     hidden_group_size_z
      - .offset:         122
        .size:           2
        .value_kind:     hidden_remainder_x
      - .offset:         124
        .size:           2
        .value_kind:     hidden_remainder_y
      - .offset:         126
        .size:           2
        .value_kind:     hidden_remainder_z
      - .offset:         144
        .size:           8
        .value_kind:     hidden_global_offset_x
      - .offset:         152
        .size:           8
        .value_kind:     hidden_global_offset_y
      - .offset:         160
        .size:           8
        .value_kind:     hidden_global_offset_z
      - .offset:         168
        .size:           2
        .value_kind:     hidden_grid_dims
    .group_segment_fixed_size: 0
    .kernarg_segment_align: 8
    .kernarg_segment_size: 360
    .language:       OpenCL C
    .language_version:
      - 2
      - 0
    .max_flat_workgroup_size: 1024
    .name:           _ZN2at6native12_GLOBAL__N_131cdist_backward_kernel_cuda_implIfNS1_5distsIfE3infEEEvPT_PKS6_S9_S9_S9_S6_lllllll
    .private_segment_fixed_size: 0
    .sgpr_count:     40
    .sgpr_spill_count: 0
    .symbol:         _ZN2at6native12_GLOBAL__N_131cdist_backward_kernel_cuda_implIfNS1_5distsIfE3infEEEvPT_PKS6_S9_S9_S9_S6_lllllll.kd
    .uniform_work_group_size: 1
    .uses_dynamic_stack: false
    .vgpr_count:     24
    .vgpr_spill_count: 0
    .wavefront_size: 64
amdhsa.target:   amdgcn-amd-amdhsa--gfx950
amdhsa.version:
  - 1
  - 2
...

	.end_amdgpu_metadata
